;; amdgpu-corpus repo=ROCm/rocPRIM kind=compiled arch=gfx1100 opt=O3
	.text
	.amdgcn_target "amdgcn-amd-amdhsa--gfx1100"
	.amdhsa_code_object_version 6
	.section	.text._Z30block_run_length_decode_kernelI12hip_bfloat16iLj256ELj9ELj7EEvPKT_PKT0_PS1_PS4_,"axG",@progbits,_Z30block_run_length_decode_kernelI12hip_bfloat16iLj256ELj9ELj7EEvPKT_PKT0_PS1_PS4_,comdat
	.protected	_Z30block_run_length_decode_kernelI12hip_bfloat16iLj256ELj9ELj7EEvPKT_PKT0_PS1_PS4_ ; -- Begin function _Z30block_run_length_decode_kernelI12hip_bfloat16iLj256ELj9ELj7EEvPKT_PKT0_PS1_PS4_
	.globl	_Z30block_run_length_decode_kernelI12hip_bfloat16iLj256ELj9ELj7EEvPKT_PKT0_PS1_PS4_
	.p2align	8
	.type	_Z30block_run_length_decode_kernelI12hip_bfloat16iLj256ELj9ELj7EEvPKT_PKT0_PS1_PS4_,@function
_Z30block_run_length_decode_kernelI12hip_bfloat16iLj256ELj9ELj7EEvPKT_PKT0_PS1_PS4_: ; @_Z30block_run_length_decode_kernelI12hip_bfloat16iLj256ELj9ELj7EEvPKT_PKT0_PS1_PS4_
; %bb.0:
	s_load_b256 s[0:7], s[0:1], 0x0
	v_lshl_or_b32 v13, s15, 8, v0
	v_mov_b32_e32 v6, 0
	v_or_b32_e32 v19, 31, v0
	s_delay_alu instid0(VALU_DEP_3) | instskip(NEXT) | instid1(VALU_DEP_1)
	v_lshl_add_u32 v5, v13, 3, v13
	v_lshlrev_b64 v[1:2], 2, v[5:6]
	v_lshlrev_b64 v[5:6], 1, v[5:6]
	s_waitcnt lgkmcnt(0)
	s_delay_alu instid0(VALU_DEP_2) | instskip(NEXT) | instid1(VALU_DEP_3)
	v_add_co_u32 v7, vcc_lo, s2, v1
	v_add_co_ci_u32_e32 v8, vcc_lo, s3, v2, vcc_lo
	s_delay_alu instid0(VALU_DEP_3) | instskip(NEXT) | instid1(VALU_DEP_4)
	v_add_co_u32 v14, vcc_lo, s0, v5
	v_add_co_ci_u32_e32 v15, vcc_lo, s1, v6, vcc_lo
	s_clause 0x2
	global_load_b128 v[9:12], v[7:8], off
	global_load_b128 v[1:4], v[7:8], off offset:16
	global_load_b32 v16, v[7:8], off offset:32
	s_mov_b32 s0, exec_lo
	s_clause 0x1
	global_load_b128 v[5:8], v[14:15], off
	global_load_u16 v14, v[14:15], off offset:16
	s_waitcnt vmcnt(4)
	v_add3_u32 v15, v10, v9, v11
	s_waitcnt vmcnt(3)
	s_delay_alu instid0(VALU_DEP_1) | instskip(NEXT) | instid1(VALU_DEP_1)
	v_add3_u32 v15, v15, v12, v1
	v_add3_u32 v17, v15, v2, v3
	v_mbcnt_lo_u32_b32 v15, -1, 0
	s_waitcnt vmcnt(2)
	s_delay_alu instid0(VALU_DEP_2) | instskip(NEXT) | instid1(VALU_DEP_2)
	v_add3_u32 v16, v17, v4, v16
	v_and_b32_e32 v17, 15, v15
	s_delay_alu instid0(VALU_DEP_2) | instskip(NEXT) | instid1(VALU_DEP_2)
	v_mov_b32_dpp v18, v16 row_shr:1 row_mask:0xf bank_mask:0xf
	v_cmp_ne_u32_e32 vcc_lo, 0, v17
	s_delay_alu instid0(VALU_DEP_2) | instskip(SKIP_1) | instid1(VALU_DEP_2)
	v_cndmask_b32_e32 v18, 0, v18, vcc_lo
	v_cmp_lt_u32_e32 vcc_lo, 1, v17
	v_add_nc_u32_e32 v16, v18, v16
	s_delay_alu instid0(VALU_DEP_1) | instskip(NEXT) | instid1(VALU_DEP_1)
	v_mov_b32_dpp v18, v16 row_shr:2 row_mask:0xf bank_mask:0xf
	v_cndmask_b32_e32 v18, 0, v18, vcc_lo
	v_cmp_lt_u32_e32 vcc_lo, 3, v17
	s_delay_alu instid0(VALU_DEP_2) | instskip(NEXT) | instid1(VALU_DEP_1)
	v_add_nc_u32_e32 v16, v16, v18
	v_mov_b32_dpp v18, v16 row_shr:4 row_mask:0xf bank_mask:0xf
	s_delay_alu instid0(VALU_DEP_1) | instskip(SKIP_1) | instid1(VALU_DEP_2)
	v_cndmask_b32_e32 v18, 0, v18, vcc_lo
	v_cmp_lt_u32_e32 vcc_lo, 7, v17
	v_add_nc_u32_e32 v16, v16, v18
	s_delay_alu instid0(VALU_DEP_1) | instskip(NEXT) | instid1(VALU_DEP_1)
	v_mov_b32_dpp v18, v16 row_shr:8 row_mask:0xf bank_mask:0xf
	v_cndmask_b32_e32 v17, 0, v18, vcc_lo
	v_bfe_i32 v18, v15, 4, 1
	s_delay_alu instid0(VALU_DEP_2) | instskip(SKIP_4) | instid1(VALU_DEP_2)
	v_add_nc_u32_e32 v16, v16, v17
	ds_swizzle_b32 v17, v16 offset:swizzle(BROADCAST,32,15)
	s_waitcnt lgkmcnt(0)
	v_and_b32_e32 v18, v18, v17
	v_lshrrev_b32_e32 v17, 5, v0
	v_add_nc_u32_e32 v16, v16, v18
	v_cmpx_eq_u32_e64 v19, v0
	s_cbranch_execz .LBB0_2
; %bb.1:
	s_delay_alu instid0(VALU_DEP_3)
	v_lshlrev_b32_e32 v18, 2, v17
	ds_store_b32 v18, v16
.LBB0_2:
	s_or_b32 exec_lo, exec_lo, s0
	s_delay_alu instid0(SALU_CYCLE_1)
	s_mov_b32 s0, exec_lo
	s_waitcnt vmcnt(0) lgkmcnt(0)
	s_barrier
	buffer_gl0_inv
	v_cmpx_gt_u32_e32 8, v0
	s_cbranch_execz .LBB0_4
; %bb.3:
	v_and_b32_e32 v20, 7, v15
	s_delay_alu instid0(VALU_DEP_1) | instskip(SKIP_4) | instid1(VALU_DEP_1)
	v_cmp_ne_u32_e32 vcc_lo, 0, v20
	v_lshlrev_b32_e32 v18, 2, v0
	ds_load_b32 v19, v18
	s_waitcnt lgkmcnt(0)
	v_mov_b32_dpp v21, v19 row_shr:1 row_mask:0xf bank_mask:0xf
	v_cndmask_b32_e32 v21, 0, v21, vcc_lo
	v_cmp_lt_u32_e32 vcc_lo, 1, v20
	s_delay_alu instid0(VALU_DEP_2) | instskip(NEXT) | instid1(VALU_DEP_1)
	v_add_nc_u32_e32 v19, v21, v19
	v_mov_b32_dpp v21, v19 row_shr:2 row_mask:0xf bank_mask:0xf
	s_delay_alu instid0(VALU_DEP_1) | instskip(SKIP_1) | instid1(VALU_DEP_2)
	v_cndmask_b32_e32 v21, 0, v21, vcc_lo
	v_cmp_lt_u32_e32 vcc_lo, 3, v20
	v_add_nc_u32_e32 v19, v19, v21
	s_delay_alu instid0(VALU_DEP_1) | instskip(NEXT) | instid1(VALU_DEP_1)
	v_mov_b32_dpp v21, v19 row_shr:4 row_mask:0xf bank_mask:0xf
	v_cndmask_b32_e32 v20, 0, v21, vcc_lo
	s_delay_alu instid0(VALU_DEP_1)
	v_add_nc_u32_e32 v19, v19, v20
	ds_store_b32 v18, v19
.LBB0_4:
	s_or_b32 exec_lo, exec_lo, s0
	v_dual_mov_b32 v18, 0 :: v_dual_mov_b32 v19, 0
	s_mov_b32 s0, exec_lo
	s_waitcnt lgkmcnt(0)
	s_barrier
	buffer_gl0_inv
	v_cmpx_lt_u32_e32 31, v0
	s_cbranch_execz .LBB0_6
; %bb.5:
	v_lshl_add_u32 v17, v17, 2, -4
	ds_load_b32 v19, v17
.LBB0_6:
	s_or_b32 exec_lo, exec_lo, s0
	v_add_nc_u32_e32 v17, -1, v15
	s_mov_b32 s9, 0
	s_waitcnt lgkmcnt(0)
	v_add_nc_u32_e32 v16, v19, v16
	s_delay_alu instid0(VALU_DEP_2) | instskip(SKIP_2) | instid1(VALU_DEP_2)
	v_cmp_gt_i32_e32 vcc_lo, 0, v17
	v_cndmask_b32_e32 v17, v17, v15, vcc_lo
	v_cmp_eq_u32_e32 vcc_lo, 0, v15
	v_lshlrev_b32_e32 v17, 2, v17
	ds_bpermute_b32 v16, v17, v16
	v_mul_u32_u24_e32 v17, 9, v0
	s_waitcnt lgkmcnt(0)
	v_cndmask_b32_e32 v15, v16, v19, vcc_lo
	v_cmp_ne_u32_e32 vcc_lo, 0, v0
	ds_load_b32 v16, v18 offset:28
	v_lshlrev_b32_e32 v18, 2, v17
	v_lshlrev_b32_e32 v17, 1, v17
	s_waitcnt lgkmcnt(0)
	v_cndmask_b32_e32 v15, 0, v15, vcc_lo
	s_barrier
	v_add_nc_u32_e32 v19, 0x1204, v18
	v_add_nc_u32_e32 v21, 0x1214, v18
	;; [unrolled: 1-line block ×4, first 2 shown]
	buffer_gl0_inv
	v_add_nc_u32_e32 v10, v9, v10
	s_delay_alu instid0(VALU_DEP_1) | instskip(SKIP_2) | instid1(VALU_DEP_3)
	v_add_nc_u32_e32 v11, v10, v11
	v_cmp_eq_u32_e32 vcc_lo, 0, v16
	v_readfirstlane_b32 s10, v16
	v_add_nc_u32_e32 v12, v11, v12
	s_and_b32 vcc_lo, exec_lo, vcc_lo
	ds_store_b32 v18, v15 offset:4608
	ds_store_b32 v17, v5
	ds_store_2addr_b32 v19, v9, v10 offset1:1
	ds_store_b32 v17, v6 offset:4
	ds_store_2addr_b32 v20, v11, v12 offset1:1
	ds_store_b32 v17, v7 offset:8
	v_add_nc_u32_e32 v1, v12, v1
	s_delay_alu instid0(VALU_DEP_1) | instskip(NEXT) | instid1(VALU_DEP_1)
	v_add_nc_u32_e32 v2, v1, v2
	v_add_nc_u32_e32 v3, v2, v3
	s_delay_alu instid0(VALU_DEP_1)
	v_add_nc_u32_e32 v4, v3, v4
	ds_store_2addr_b32 v21, v1, v2 offset1:1
	ds_store_b32 v17, v8 offset:12
	ds_store_b32 v18, v3 offset:4636
	ds_store_b16 v17, v14 offset:16
	ds_store_b32 v18, v4 offset:4640
	s_waitcnt lgkmcnt(0)
	s_barrier
	buffer_gl0_inv
	s_cbranch_vccnz .LBB0_49
; %bb.7:
	v_mul_lo_u32 v1, v13, 7
	v_mov_b32_e32 v2, 0
	v_mul_u32_u24_e32 v0, 7, v0
	s_mov_b32 s8, s9
	v_mov_b32_e32 v15, 0x480
	s_delay_alu instid0(VALU_DEP_4)
	v_dual_mov_b32 v16, 0x240 :: v_dual_add_nc_u32 v5, 1, v1
	ds_load_b32 v4, v2 offset:9216
	v_lshlrev_b64 v[10:11], 1, v[1:2]
	v_lshlrev_b64 v[2:3], 2, v[1:2]
	v_add_nc_u32_e32 v6, 2, v1
	v_add_nc_u32_e32 v7, 3, v1
	;; [unrolled: 1-line block ×4, first 2 shown]
	v_add_co_u32 v10, vcc_lo, s4, v10
	v_add_co_ci_u32_e32 v11, vcc_lo, s5, v11, vcc_lo
	v_add_co_u32 v13, vcc_lo, s6, v2
	v_add_nc_u32_e32 v12, 6, v1
	v_add_co_ci_u32_e32 v14, vcc_lo, s7, v3, vcc_lo
	s_mov_b32 s7, s10
	s_branch .LBB0_9
.LBB0_8:                                ;   in Loop: Header=BB0_9 Depth=1
	s_or_b32 exec_lo, exec_lo, s0
	s_addk_i32 s8, 0x700
	s_addk_i32 s7, 0xf900
	s_cmp_lt_u32 s8, s10
	s_cbranch_scc0 .LBB0_49
.LBB0_9:                                ; =>This Inner Loop Header: Depth=1
	v_add_nc_u32_e32 v17, s8, v0
	s_waitcnt lgkmcnt(0)
	s_delay_alu instid0(VALU_DEP_1) | instskip(SKIP_3) | instid1(VALU_DEP_3)
	v_cmp_gt_u32_e32 vcc_lo, v4, v17
	v_cndmask_b32_e32 v3, 0x6c0, v16, vcc_lo
	v_cndmask_b32_e64 v2, 0x481, 0, vcc_lo
	v_cndmask_b32_e32 v19, 0x900, v15, vcc_lo
	v_lshlrev_b32_e32 v18, 2, v3
	v_or_b32_e32 v20, 1, v3
	ds_load_b32 v18, v18 offset:4608
	s_waitcnt lgkmcnt(0)
	v_cmp_gt_u32_e32 vcc_lo, v18, v17
	v_dual_cndmask_b32 v2, v20, v2 :: v_dual_cndmask_b32 v3, v19, v3
	s_delay_alu instid0(VALU_DEP_1) | instskip(NEXT) | instid1(VALU_DEP_1)
	v_sub_nc_u32_e32 v18, v3, v2
	v_lshrrev_b16 v19, 15, v18
	s_delay_alu instid0(VALU_DEP_1) | instskip(NEXT) | instid1(VALU_DEP_1)
	v_add_nc_u16 v18, v18, v19
	v_ashrrev_i16 v18, 1, v18
	s_delay_alu instid0(VALU_DEP_1) | instskip(NEXT) | instid1(VALU_DEP_1)
	v_bfe_i32 v18, v18, 0, 16
	v_add_nc_u32_e32 v18, v2, v18
	s_delay_alu instid0(VALU_DEP_1) | instskip(NEXT) | instid1(VALU_DEP_1)
	v_min_i32_e32 v18, 0x8ff, v18
	v_lshlrev_b32_e32 v19, 2, v18
	v_add_nc_u32_e32 v20, 1, v18
	ds_load_b32 v19, v19 offset:4608
	s_waitcnt lgkmcnt(0)
	v_cmp_gt_u32_e32 vcc_lo, v19, v17
	v_cndmask_b32_e32 v2, v20, v2, vcc_lo
	v_cndmask_b32_e32 v3, v3, v18, vcc_lo
	s_delay_alu instid0(VALU_DEP_1) | instskip(NEXT) | instid1(VALU_DEP_1)
	v_sub_nc_u32_e32 v18, v3, v2
	v_lshrrev_b16 v19, 15, v18
	s_delay_alu instid0(VALU_DEP_1) | instskip(NEXT) | instid1(VALU_DEP_1)
	v_add_nc_u16 v18, v18, v19
	v_ashrrev_i16 v18, 1, v18
	s_delay_alu instid0(VALU_DEP_1) | instskip(NEXT) | instid1(VALU_DEP_1)
	v_bfe_i32 v18, v18, 0, 16
	v_add_nc_u32_e32 v18, v2, v18
	s_delay_alu instid0(VALU_DEP_1) | instskip(NEXT) | instid1(VALU_DEP_1)
	v_min_i32_e32 v18, 0x8ff, v18
	v_lshlrev_b32_e32 v19, 2, v18
	v_add_nc_u32_e32 v20, 1, v18
	ds_load_b32 v19, v19 offset:4608
	s_waitcnt lgkmcnt(0)
	v_cmp_gt_u32_e32 vcc_lo, v19, v17
	v_cndmask_b32_e32 v2, v20, v2, vcc_lo
	v_cndmask_b32_e32 v3, v3, v18, vcc_lo
	;; [unrolled: 18-line block ×7, first 2 shown]
	s_delay_alu instid0(VALU_DEP_1) | instskip(NEXT) | instid1(VALU_DEP_1)
	v_sub_nc_u32_e32 v18, v3, v2
	v_lshrrev_b32_e32 v19, 31, v18
	s_delay_alu instid0(VALU_DEP_1) | instskip(NEXT) | instid1(VALU_DEP_1)
	v_add_nc_u32_e32 v18, v18, v19
	v_ashrrev_i32_e32 v18, 1, v18
	s_delay_alu instid0(VALU_DEP_1) | instskip(NEXT) | instid1(VALU_DEP_1)
	v_add_nc_u32_e32 v18, v18, v2
	v_min_i32_e32 v18, 0x8ff, v18
	s_delay_alu instid0(VALU_DEP_1)
	v_lshlrev_b32_e32 v19, 2, v18
	v_add_nc_u32_e32 v20, 1, v18
	ds_load_b32 v19, v19 offset:4608
	s_waitcnt lgkmcnt(0)
	v_cmp_gt_u32_e32 vcc_lo, v19, v17
	v_cndmask_b32_e32 v2, v20, v2, vcc_lo
	v_cndmask_b32_e32 v3, v3, v18, vcc_lo
	s_delay_alu instid0(VALU_DEP_1) | instskip(NEXT) | instid1(VALU_DEP_1)
	v_sub_nc_u32_e32 v18, v3, v2
	v_lshrrev_b32_e32 v19, 31, v18
	s_delay_alu instid0(VALU_DEP_1) | instskip(NEXT) | instid1(VALU_DEP_1)
	v_add_nc_u32_e32 v18, v18, v19
	v_ashrrev_i32_e32 v18, 1, v18
	s_delay_alu instid0(VALU_DEP_1) | instskip(NEXT) | instid1(VALU_DEP_1)
	v_add_nc_u32_e32 v18, v18, v2
	v_min_i32_e32 v18, 0x8ff, v18
	s_delay_alu instid0(VALU_DEP_1)
	v_lshlrev_b32_e32 v19, 2, v18
	v_add_nc_u32_e32 v20, 1, v18
	ds_load_b32 v19, v19 offset:4608
	s_waitcnt lgkmcnt(0)
	v_cmp_gt_u32_e32 vcc_lo, v19, v17
	v_cndmask_b32_e32 v2, v20, v2, vcc_lo
	v_cndmask_b32_e32 v3, v3, v18, vcc_lo
	s_delay_alu instid0(VALU_DEP_1) | instskip(NEXT) | instid1(VALU_DEP_1)
	v_sub_nc_u32_e32 v18, v3, v2
	v_lshrrev_b32_e32 v19, 31, v18
	s_delay_alu instid0(VALU_DEP_1) | instskip(NEXT) | instid1(VALU_DEP_1)
	v_add_nc_u32_e32 v18, v18, v19
	v_ashrrev_i32_e32 v18, 1, v18
	s_delay_alu instid0(VALU_DEP_1) | instskip(NEXT) | instid1(VALU_DEP_1)
	v_add_nc_u32_e32 v18, v18, v2
	v_min_i32_e32 v18, 0x8ff, v18
	s_delay_alu instid0(VALU_DEP_1)
	v_lshlrev_b32_e32 v19, 2, v18
	v_add_nc_u32_e32 v20, 1, v18
	ds_load_b32 v19, v19 offset:4608
	s_waitcnt lgkmcnt(0)
	v_cmp_gt_u32_e32 vcc_lo, v19, v17
	v_dual_cndmask_b32 v2, v20, v2 :: v_dual_add_nc_u32 v19, 1, v17
	v_cndmask_b32_e32 v3, v3, v18, vcc_lo
	s_delay_alu instid0(VALU_DEP_1) | instskip(NEXT) | instid1(VALU_DEP_1)
	v_sub_nc_u32_e32 v3, v3, v2
	v_lshrrev_b32_e32 v18, 31, v3
	s_delay_alu instid0(VALU_DEP_1) | instskip(NEXT) | instid1(VALU_DEP_1)
	v_add_nc_u32_e32 v3, v3, v18
	v_ashrrev_i32_e32 v3, 1, v3
	s_delay_alu instid0(VALU_DEP_1) | instskip(NEXT) | instid1(VALU_DEP_1)
	v_add_nc_u32_e32 v3, v3, v2
	v_min_i32_e32 v3, 0x8ff, v3
	s_delay_alu instid0(VALU_DEP_1)
	v_lshlrev_b32_e32 v18, 2, v3
	v_add_nc_u32_e32 v3, 1, v3
	ds_load_b32 v18, v18 offset:4608
	s_waitcnt lgkmcnt(0)
	v_cmp_gt_u32_e32 vcc_lo, v18, v17
	v_cndmask_b32_e32 v26, v3, v2, vcc_lo
	s_delay_alu instid0(VALU_DEP_1) | instskip(SKIP_1) | instid1(VALU_DEP_2)
	v_lshlrev_b32_e32 v20, 2, v26
	v_lshl_add_u32 v18, v26, 1, -2
	v_add_nc_u32_e32 v2, 0x11fc, v20
	ds_load_u16 v23, v18
	ds_load_2addr_b32 v[2:3], v2 offset1:1
	s_waitcnt lgkmcnt(1)
	v_mov_b32_e32 v24, v23
	s_waitcnt lgkmcnt(0)
	v_sub_nc_u32_e32 v18, v17, v2
	v_cmp_eq_u32_e32 vcc_lo, v19, v3
	s_delay_alu instid0(VALU_DEP_2)
	v_mov_b32_e32 v19, v18
	s_and_saveexec_b32 s0, vcc_lo
	s_cbranch_execz .LBB0_11
; %bb.10:                               ;   in Loop: Header=BB0_9 Depth=1
	v_lshlrev_b32_e32 v2, 1, v26
	v_add_nc_u32_e32 v26, 1, v26
	v_sub_nc_u32_e32 v19, v17, v3
	ds_load_b32 v20, v20 offset:4612
	ds_load_u16 v24, v2
	s_waitcnt lgkmcnt(1)
	v_mov_b32_e32 v3, v20
.LBB0_11:                               ;   in Loop: Header=BB0_9 Depth=1
	s_or_b32 exec_lo, exec_lo, s0
	s_waitcnt lgkmcnt(0)
	v_dual_mov_b32 v27, v24 :: v_dual_add_nc_u32 v2, 2, v17
	v_mov_b32_e32 v20, v19
	s_mov_b32 s0, exec_lo
	s_delay_alu instid0(VALU_DEP_2)
	v_cmpx_eq_u32_e64 v2, v3
	s_cbranch_execz .LBB0_13
; %bb.12:                               ;   in Loop: Header=BB0_9 Depth=1
	v_lshlrev_b32_e32 v2, 1, v26
	v_add_nc_u32_e32 v26, 1, v26
	s_delay_alu instid0(VALU_DEP_1)
	v_lshlrev_b32_e32 v20, 2, v26
	ds_load_b32 v21, v20 offset:4608
	ds_load_u16 v27, v2
	v_sub_nc_u32_e32 v20, v17, v3
	s_waitcnt lgkmcnt(1)
	v_mov_b32_e32 v3, v21
.LBB0_13:                               ;   in Loop: Header=BB0_9 Depth=1
	s_or_b32 exec_lo, exec_lo, s0
	s_delay_alu instid0(VALU_DEP_2) | instskip(SKIP_3) | instid1(VALU_DEP_2)
	v_dual_mov_b32 v21, v20 :: v_dual_add_nc_u32 v2, 3, v17
	s_waitcnt lgkmcnt(0)
	v_mov_b32_e32 v29, v27
	s_mov_b32 s0, exec_lo
	v_cmpx_eq_u32_e64 v2, v3
	s_cbranch_execz .LBB0_15
; %bb.14:                               ;   in Loop: Header=BB0_9 Depth=1
	v_lshl_add_u32 v2, v26, 2, 0x1200
	v_lshlrev_b32_e32 v21, 1, v26
	v_add_nc_u32_e32 v26, 1, v26
	ds_load_2addr_b32 v[2:3], v2 offset1:1
	ds_load_u16 v29, v21
	s_waitcnt lgkmcnt(1)
	v_sub_nc_u32_e32 v21, v17, v2
.LBB0_15:                               ;   in Loop: Header=BB0_9 Depth=1
	s_or_b32 exec_lo, exec_lo, s0
	v_add_nc_u32_e32 v2, 4, v17
	s_delay_alu instid0(VALU_DEP_2)
	v_mov_b32_e32 v22, v21
	s_waitcnt lgkmcnt(0)
	v_mov_b32_e32 v30, v29
	s_mov_b32 s0, exec_lo
	v_cmpx_eq_u32_e64 v2, v3
	s_cbranch_execz .LBB0_17
; %bb.16:                               ;   in Loop: Header=BB0_9 Depth=1
	v_lshl_add_u32 v2, v26, 2, 0x1200
	v_lshlrev_b32_e32 v22, 1, v26
	v_add_nc_u32_e32 v26, 1, v26
	ds_load_2addr_b32 v[2:3], v2 offset1:1
	ds_load_u16 v30, v22
	s_waitcnt lgkmcnt(1)
	v_sub_nc_u32_e32 v22, v17, v2
.LBB0_17:                               ;   in Loop: Header=BB0_9 Depth=1
	s_or_b32 exec_lo, exec_lo, s0
	s_delay_alu instid0(VALU_DEP_1) | instskip(SKIP_3) | instid1(VALU_DEP_2)
	v_dual_mov_b32 v25, v22 :: v_dual_add_nc_u32 v2, 5, v17
	s_waitcnt lgkmcnt(0)
	v_mov_b32_e32 v31, v30
	s_mov_b32 s0, exec_lo
	v_cmpx_eq_u32_e64 v2, v3
	s_cbranch_execz .LBB0_19
; %bb.18:                               ;   in Loop: Header=BB0_9 Depth=1
	v_lshl_add_u32 v2, v26, 2, 0x1200
	v_lshlrev_b32_e32 v25, 1, v26
	v_add_nc_u32_e32 v26, 1, v26
	ds_load_2addr_b32 v[2:3], v2 offset1:1
	ds_load_u16 v31, v25
	s_waitcnt lgkmcnt(1)
	v_sub_nc_u32_e32 v25, v17, v2
.LBB0_19:                               ;   in Loop: Header=BB0_9 Depth=1
	s_or_b32 exec_lo, exec_lo, s0
	v_add_nc_u32_e32 v2, 6, v17
	s_delay_alu instid0(VALU_DEP_2)
	v_mov_b32_e32 v28, v25
	s_waitcnt lgkmcnt(0)
	v_mov_b32_e32 v32, v31
	s_mov_b32 s0, exec_lo
	v_cmpx_eq_u32_e64 v2, v3
	s_cbranch_execz .LBB0_21
; %bb.20:                               ;   in Loop: Header=BB0_9 Depth=1
	v_lshlrev_b32_e32 v2, 2, v26
	v_lshlrev_b32_e32 v3, 1, v26
	ds_load_b32 v2, v2 offset:4608
	ds_load_u16 v32, v3
	s_waitcnt lgkmcnt(1)
	v_sub_nc_u32_e32 v28, v17, v2
.LBB0_21:                               ;   in Loop: Header=BB0_9 Depth=1
	s_or_b32 exec_lo, exec_lo, s0
	s_lshl_b64 s[0:1], s[8:9], 1
	s_min_u32 s5, s7, 0x700
	v_add_co_u32 v2, vcc_lo, v10, s0
	v_add_co_ci_u32_e32 v3, vcc_lo, s1, v11, vcc_lo
	v_cmp_gt_u32_e32 vcc_lo, s5, v1
	s_and_saveexec_b32 s0, vcc_lo
	s_cbranch_execnz .LBB0_36
; %bb.22:                               ;   in Loop: Header=BB0_9 Depth=1
	s_or_b32 exec_lo, exec_lo, s0
	v_cmp_gt_u32_e64 s0, s5, v5
	s_delay_alu instid0(VALU_DEP_1)
	s_and_saveexec_b32 s1, s0
	s_cbranch_execnz .LBB0_37
.LBB0_23:                               ;   in Loop: Header=BB0_9 Depth=1
	s_or_b32 exec_lo, exec_lo, s1
	v_cmp_gt_u32_e64 s1, s5, v6
	s_delay_alu instid0(VALU_DEP_1)
	s_and_saveexec_b32 s2, s1
	s_cbranch_execnz .LBB0_38
.LBB0_24:                               ;   in Loop: Header=BB0_9 Depth=1
	s_or_b32 exec_lo, exec_lo, s2
	v_cmp_gt_u32_e64 s2, s5, v7
	s_delay_alu instid0(VALU_DEP_1)
	s_and_saveexec_b32 s3, s2
	s_cbranch_execnz .LBB0_39
.LBB0_25:                               ;   in Loop: Header=BB0_9 Depth=1
	s_or_b32 exec_lo, exec_lo, s3
	v_cmp_gt_u32_e64 s3, s5, v8
	s_delay_alu instid0(VALU_DEP_1)
	s_and_saveexec_b32 s4, s3
	s_cbranch_execnz .LBB0_40
.LBB0_26:                               ;   in Loop: Header=BB0_9 Depth=1
	s_or_b32 exec_lo, exec_lo, s4
	v_cmp_gt_u32_e64 s4, s5, v9
	s_delay_alu instid0(VALU_DEP_1)
	s_and_saveexec_b32 s6, s4
	s_cbranch_execnz .LBB0_41
.LBB0_27:                               ;   in Loop: Header=BB0_9 Depth=1
	s_or_b32 exec_lo, exec_lo, s6
	v_cmp_gt_u32_e64 s5, s5, v12
	s_delay_alu instid0(VALU_DEP_1)
	s_and_saveexec_b32 s6, s5
	s_cbranch_execz .LBB0_29
.LBB0_28:                               ;   in Loop: Header=BB0_9 Depth=1
	s_waitcnt lgkmcnt(0)
	global_store_b16 v[2:3], v32, off offset:12
.LBB0_29:                               ;   in Loop: Header=BB0_9 Depth=1
	s_or_b32 exec_lo, exec_lo, s6
	s_lshl_b64 s[12:13], s[8:9], 2
	s_delay_alu instid0(SALU_CYCLE_1) | instskip(NEXT) | instid1(VALU_DEP_1)
	v_add_co_u32 v2, s6, v13, s12
	v_add_co_ci_u32_e64 v3, s6, s13, v14, s6
	s_and_saveexec_b32 s6, vcc_lo
	s_cbranch_execnz .LBB0_42
; %bb.30:                               ;   in Loop: Header=BB0_9 Depth=1
	s_or_b32 exec_lo, exec_lo, s6
	s_and_saveexec_b32 s6, s0
	s_cbranch_execnz .LBB0_43
.LBB0_31:                               ;   in Loop: Header=BB0_9 Depth=1
	s_or_b32 exec_lo, exec_lo, s6
	s_and_saveexec_b32 s0, s1
	s_cbranch_execnz .LBB0_44
.LBB0_32:                               ;   in Loop: Header=BB0_9 Depth=1
	s_or_b32 exec_lo, exec_lo, s0
	s_and_saveexec_b32 s0, s2
	s_cbranch_execnz .LBB0_45
.LBB0_33:                               ;   in Loop: Header=BB0_9 Depth=1
	s_or_b32 exec_lo, exec_lo, s0
	s_and_saveexec_b32 s0, s3
	s_cbranch_execnz .LBB0_46
.LBB0_34:                               ;   in Loop: Header=BB0_9 Depth=1
	s_or_b32 exec_lo, exec_lo, s0
	s_and_saveexec_b32 s0, s4
	s_cbranch_execnz .LBB0_47
.LBB0_35:                               ;   in Loop: Header=BB0_9 Depth=1
	s_or_b32 exec_lo, exec_lo, s0
	s_and_saveexec_b32 s0, s5
	s_cbranch_execz .LBB0_8
	s_branch .LBB0_48
.LBB0_36:                               ;   in Loop: Header=BB0_9 Depth=1
	global_store_b16 v[2:3], v23, off
	s_or_b32 exec_lo, exec_lo, s0
	v_cmp_gt_u32_e64 s0, s5, v5
	s_delay_alu instid0(VALU_DEP_1)
	s_and_saveexec_b32 s1, s0
	s_cbranch_execz .LBB0_23
.LBB0_37:                               ;   in Loop: Header=BB0_9 Depth=1
	global_store_b16 v[2:3], v24, off offset:2
	s_or_b32 exec_lo, exec_lo, s1
	v_cmp_gt_u32_e64 s1, s5, v6
	s_delay_alu instid0(VALU_DEP_1)
	s_and_saveexec_b32 s2, s1
	s_cbranch_execz .LBB0_24
.LBB0_38:                               ;   in Loop: Header=BB0_9 Depth=1
	global_store_b16 v[2:3], v27, off offset:4
	s_or_b32 exec_lo, exec_lo, s2
	v_cmp_gt_u32_e64 s2, s5, v7
	s_delay_alu instid0(VALU_DEP_1)
	s_and_saveexec_b32 s3, s2
	s_cbranch_execz .LBB0_25
.LBB0_39:                               ;   in Loop: Header=BB0_9 Depth=1
	global_store_b16 v[2:3], v29, off offset:6
	s_or_b32 exec_lo, exec_lo, s3
	v_cmp_gt_u32_e64 s3, s5, v8
	s_delay_alu instid0(VALU_DEP_1)
	s_and_saveexec_b32 s4, s3
	s_cbranch_execz .LBB0_26
.LBB0_40:                               ;   in Loop: Header=BB0_9 Depth=1
	global_store_b16 v[2:3], v30, off offset:8
	s_or_b32 exec_lo, exec_lo, s4
	v_cmp_gt_u32_e64 s4, s5, v9
	s_delay_alu instid0(VALU_DEP_1)
	s_and_saveexec_b32 s6, s4
	s_cbranch_execz .LBB0_27
.LBB0_41:                               ;   in Loop: Header=BB0_9 Depth=1
	global_store_b16 v[2:3], v31, off offset:10
	s_or_b32 exec_lo, exec_lo, s6
	v_cmp_gt_u32_e64 s5, s5, v12
	s_delay_alu instid0(VALU_DEP_1)
	s_and_saveexec_b32 s6, s5
	s_cbranch_execnz .LBB0_28
	s_branch .LBB0_29
.LBB0_42:                               ;   in Loop: Header=BB0_9 Depth=1
	global_store_b32 v[2:3], v18, off
	s_or_b32 exec_lo, exec_lo, s6
	s_and_saveexec_b32 s6, s0
	s_cbranch_execz .LBB0_31
.LBB0_43:                               ;   in Loop: Header=BB0_9 Depth=1
	v_add_nc_u32_e32 v17, 1, v19
	global_store_b32 v[2:3], v17, off offset:4
	s_or_b32 exec_lo, exec_lo, s6
	s_and_saveexec_b32 s0, s1
	s_cbranch_execz .LBB0_32
.LBB0_44:                               ;   in Loop: Header=BB0_9 Depth=1
	v_add_nc_u32_e32 v17, 2, v20
	global_store_b32 v[2:3], v17, off offset:8
	s_or_b32 exec_lo, exec_lo, s0
	s_and_saveexec_b32 s0, s2
	s_cbranch_execz .LBB0_33
.LBB0_45:                               ;   in Loop: Header=BB0_9 Depth=1
	v_add_nc_u32_e32 v17, 3, v21
	global_store_b32 v[2:3], v17, off offset:12
	s_or_b32 exec_lo, exec_lo, s0
	s_and_saveexec_b32 s0, s3
	s_cbranch_execz .LBB0_34
.LBB0_46:                               ;   in Loop: Header=BB0_9 Depth=1
	v_add_nc_u32_e32 v17, 4, v22
	global_store_b32 v[2:3], v17, off offset:16
	s_or_b32 exec_lo, exec_lo, s0
	s_and_saveexec_b32 s0, s4
	s_cbranch_execz .LBB0_35
.LBB0_47:                               ;   in Loop: Header=BB0_9 Depth=1
	v_add_nc_u32_e32 v17, 5, v25
	global_store_b32 v[2:3], v17, off offset:20
	s_or_b32 exec_lo, exec_lo, s0
	s_and_saveexec_b32 s0, s5
	s_cbranch_execz .LBB0_8
.LBB0_48:                               ;   in Loop: Header=BB0_9 Depth=1
	v_add_nc_u32_e32 v17, 6, v28
	global_store_b32 v[2:3], v17, off offset:24
	s_branch .LBB0_8
.LBB0_49:
	s_nop 0
	s_sendmsg sendmsg(MSG_DEALLOC_VGPRS)
	s_endpgm
	.section	.rodata,"a",@progbits
	.p2align	6, 0x0
	.amdhsa_kernel _Z30block_run_length_decode_kernelI12hip_bfloat16iLj256ELj9ELj7EEvPKT_PKT0_PS1_PS4_
		.amdhsa_group_segment_fixed_size 13824
		.amdhsa_private_segment_fixed_size 0
		.amdhsa_kernarg_size 32
		.amdhsa_user_sgpr_count 15
		.amdhsa_user_sgpr_dispatch_ptr 0
		.amdhsa_user_sgpr_queue_ptr 0
		.amdhsa_user_sgpr_kernarg_segment_ptr 1
		.amdhsa_user_sgpr_dispatch_id 0
		.amdhsa_user_sgpr_private_segment_size 0
		.amdhsa_wavefront_size32 1
		.amdhsa_uses_dynamic_stack 0
		.amdhsa_enable_private_segment 0
		.amdhsa_system_sgpr_workgroup_id_x 1
		.amdhsa_system_sgpr_workgroup_id_y 0
		.amdhsa_system_sgpr_workgroup_id_z 0
		.amdhsa_system_sgpr_workgroup_info 0
		.amdhsa_system_vgpr_workitem_id 0
		.amdhsa_next_free_vgpr 33
		.amdhsa_next_free_sgpr 16
		.amdhsa_reserve_vcc 1
		.amdhsa_float_round_mode_32 0
		.amdhsa_float_round_mode_16_64 0
		.amdhsa_float_denorm_mode_32 3
		.amdhsa_float_denorm_mode_16_64 3
		.amdhsa_dx10_clamp 1
		.amdhsa_ieee_mode 1
		.amdhsa_fp16_overflow 0
		.amdhsa_workgroup_processor_mode 1
		.amdhsa_memory_ordered 1
		.amdhsa_forward_progress 0
		.amdhsa_shared_vgpr_count 0
		.amdhsa_exception_fp_ieee_invalid_op 0
		.amdhsa_exception_fp_denorm_src 0
		.amdhsa_exception_fp_ieee_div_zero 0
		.amdhsa_exception_fp_ieee_overflow 0
		.amdhsa_exception_fp_ieee_underflow 0
		.amdhsa_exception_fp_ieee_inexact 0
		.amdhsa_exception_int_div_zero 0
	.end_amdhsa_kernel
	.section	.text._Z30block_run_length_decode_kernelI12hip_bfloat16iLj256ELj9ELj7EEvPKT_PKT0_PS1_PS4_,"axG",@progbits,_Z30block_run_length_decode_kernelI12hip_bfloat16iLj256ELj9ELj7EEvPKT_PKT0_PS1_PS4_,comdat
.Lfunc_end0:
	.size	_Z30block_run_length_decode_kernelI12hip_bfloat16iLj256ELj9ELj7EEvPKT_PKT0_PS1_PS4_, .Lfunc_end0-_Z30block_run_length_decode_kernelI12hip_bfloat16iLj256ELj9ELj7EEvPKT_PKT0_PS1_PS4_
                                        ; -- End function
	.section	.AMDGPU.csdata,"",@progbits
; Kernel info:
; codeLenInByte = 3244
; NumSgprs: 18
; NumVgprs: 33
; ScratchSize: 0
; MemoryBound: 0
; FloatMode: 240
; IeeeMode: 1
; LDSByteSize: 13824 bytes/workgroup (compile time only)
; SGPRBlocks: 2
; VGPRBlocks: 4
; NumSGPRsForWavesPerEU: 18
; NumVGPRsForWavesPerEU: 33
; Occupancy: 16
; WaveLimiterHint : 0
; COMPUTE_PGM_RSRC2:SCRATCH_EN: 0
; COMPUTE_PGM_RSRC2:USER_SGPR: 15
; COMPUTE_PGM_RSRC2:TRAP_HANDLER: 0
; COMPUTE_PGM_RSRC2:TGID_X_EN: 1
; COMPUTE_PGM_RSRC2:TGID_Y_EN: 0
; COMPUTE_PGM_RSRC2:TGID_Z_EN: 0
; COMPUTE_PGM_RSRC2:TIDIG_COMP_CNT: 0
	.section	.text._Z30block_run_length_decode_kernelI6__halfiLj256ELj9ELj7EEvPKT_PKT0_PS1_PS4_,"axG",@progbits,_Z30block_run_length_decode_kernelI6__halfiLj256ELj9ELj7EEvPKT_PKT0_PS1_PS4_,comdat
	.protected	_Z30block_run_length_decode_kernelI6__halfiLj256ELj9ELj7EEvPKT_PKT0_PS1_PS4_ ; -- Begin function _Z30block_run_length_decode_kernelI6__halfiLj256ELj9ELj7EEvPKT_PKT0_PS1_PS4_
	.globl	_Z30block_run_length_decode_kernelI6__halfiLj256ELj9ELj7EEvPKT_PKT0_PS1_PS4_
	.p2align	8
	.type	_Z30block_run_length_decode_kernelI6__halfiLj256ELj9ELj7EEvPKT_PKT0_PS1_PS4_,@function
_Z30block_run_length_decode_kernelI6__halfiLj256ELj9ELj7EEvPKT_PKT0_PS1_PS4_: ; @_Z30block_run_length_decode_kernelI6__halfiLj256ELj9ELj7EEvPKT_PKT0_PS1_PS4_
; %bb.0:
	s_load_b256 s[0:7], s[0:1], 0x0
	v_lshl_or_b32 v13, s15, 8, v0
	v_mov_b32_e32 v6, 0
	v_or_b32_e32 v19, 31, v0
	s_delay_alu instid0(VALU_DEP_3) | instskip(NEXT) | instid1(VALU_DEP_1)
	v_lshl_add_u32 v5, v13, 3, v13
	v_lshlrev_b64 v[1:2], 2, v[5:6]
	v_lshlrev_b64 v[5:6], 1, v[5:6]
	s_waitcnt lgkmcnt(0)
	s_delay_alu instid0(VALU_DEP_2) | instskip(NEXT) | instid1(VALU_DEP_3)
	v_add_co_u32 v7, vcc_lo, s2, v1
	v_add_co_ci_u32_e32 v8, vcc_lo, s3, v2, vcc_lo
	s_delay_alu instid0(VALU_DEP_3) | instskip(NEXT) | instid1(VALU_DEP_4)
	v_add_co_u32 v14, vcc_lo, s0, v5
	v_add_co_ci_u32_e32 v15, vcc_lo, s1, v6, vcc_lo
	s_clause 0x2
	global_load_b128 v[9:12], v[7:8], off
	global_load_b128 v[1:4], v[7:8], off offset:16
	global_load_b32 v16, v[7:8], off offset:32
	s_mov_b32 s0, exec_lo
	s_clause 0x1
	global_load_b128 v[5:8], v[14:15], off
	global_load_u16 v14, v[14:15], off offset:16
	s_waitcnt vmcnt(4)
	v_add3_u32 v15, v10, v9, v11
	s_waitcnt vmcnt(3)
	s_delay_alu instid0(VALU_DEP_1) | instskip(NEXT) | instid1(VALU_DEP_1)
	v_add3_u32 v15, v15, v12, v1
	v_add3_u32 v17, v15, v2, v3
	v_mbcnt_lo_u32_b32 v15, -1, 0
	s_waitcnt vmcnt(2)
	s_delay_alu instid0(VALU_DEP_2) | instskip(NEXT) | instid1(VALU_DEP_2)
	v_add3_u32 v16, v17, v4, v16
	v_and_b32_e32 v17, 15, v15
	s_delay_alu instid0(VALU_DEP_2) | instskip(NEXT) | instid1(VALU_DEP_2)
	v_mov_b32_dpp v18, v16 row_shr:1 row_mask:0xf bank_mask:0xf
	v_cmp_ne_u32_e32 vcc_lo, 0, v17
	s_delay_alu instid0(VALU_DEP_2) | instskip(SKIP_1) | instid1(VALU_DEP_2)
	v_cndmask_b32_e32 v18, 0, v18, vcc_lo
	v_cmp_lt_u32_e32 vcc_lo, 1, v17
	v_add_nc_u32_e32 v16, v18, v16
	s_delay_alu instid0(VALU_DEP_1) | instskip(NEXT) | instid1(VALU_DEP_1)
	v_mov_b32_dpp v18, v16 row_shr:2 row_mask:0xf bank_mask:0xf
	v_cndmask_b32_e32 v18, 0, v18, vcc_lo
	v_cmp_lt_u32_e32 vcc_lo, 3, v17
	s_delay_alu instid0(VALU_DEP_2) | instskip(NEXT) | instid1(VALU_DEP_1)
	v_add_nc_u32_e32 v16, v16, v18
	v_mov_b32_dpp v18, v16 row_shr:4 row_mask:0xf bank_mask:0xf
	s_delay_alu instid0(VALU_DEP_1) | instskip(SKIP_1) | instid1(VALU_DEP_2)
	v_cndmask_b32_e32 v18, 0, v18, vcc_lo
	v_cmp_lt_u32_e32 vcc_lo, 7, v17
	v_add_nc_u32_e32 v16, v16, v18
	s_delay_alu instid0(VALU_DEP_1) | instskip(NEXT) | instid1(VALU_DEP_1)
	v_mov_b32_dpp v18, v16 row_shr:8 row_mask:0xf bank_mask:0xf
	v_cndmask_b32_e32 v17, 0, v18, vcc_lo
	v_bfe_i32 v18, v15, 4, 1
	s_delay_alu instid0(VALU_DEP_2) | instskip(SKIP_4) | instid1(VALU_DEP_2)
	v_add_nc_u32_e32 v16, v16, v17
	ds_swizzle_b32 v17, v16 offset:swizzle(BROADCAST,32,15)
	s_waitcnt lgkmcnt(0)
	v_and_b32_e32 v18, v18, v17
	v_lshrrev_b32_e32 v17, 5, v0
	v_add_nc_u32_e32 v16, v16, v18
	v_cmpx_eq_u32_e64 v19, v0
	s_cbranch_execz .LBB1_2
; %bb.1:
	s_delay_alu instid0(VALU_DEP_3)
	v_lshlrev_b32_e32 v18, 2, v17
	ds_store_b32 v18, v16
.LBB1_2:
	s_or_b32 exec_lo, exec_lo, s0
	s_delay_alu instid0(SALU_CYCLE_1)
	s_mov_b32 s0, exec_lo
	s_waitcnt vmcnt(0) lgkmcnt(0)
	s_barrier
	buffer_gl0_inv
	v_cmpx_gt_u32_e32 8, v0
	s_cbranch_execz .LBB1_4
; %bb.3:
	v_and_b32_e32 v20, 7, v15
	s_delay_alu instid0(VALU_DEP_1) | instskip(SKIP_4) | instid1(VALU_DEP_1)
	v_cmp_ne_u32_e32 vcc_lo, 0, v20
	v_lshlrev_b32_e32 v18, 2, v0
	ds_load_b32 v19, v18
	s_waitcnt lgkmcnt(0)
	v_mov_b32_dpp v21, v19 row_shr:1 row_mask:0xf bank_mask:0xf
	v_cndmask_b32_e32 v21, 0, v21, vcc_lo
	v_cmp_lt_u32_e32 vcc_lo, 1, v20
	s_delay_alu instid0(VALU_DEP_2) | instskip(NEXT) | instid1(VALU_DEP_1)
	v_add_nc_u32_e32 v19, v21, v19
	v_mov_b32_dpp v21, v19 row_shr:2 row_mask:0xf bank_mask:0xf
	s_delay_alu instid0(VALU_DEP_1) | instskip(SKIP_1) | instid1(VALU_DEP_2)
	v_cndmask_b32_e32 v21, 0, v21, vcc_lo
	v_cmp_lt_u32_e32 vcc_lo, 3, v20
	v_add_nc_u32_e32 v19, v19, v21
	s_delay_alu instid0(VALU_DEP_1) | instskip(NEXT) | instid1(VALU_DEP_1)
	v_mov_b32_dpp v21, v19 row_shr:4 row_mask:0xf bank_mask:0xf
	v_cndmask_b32_e32 v20, 0, v21, vcc_lo
	s_delay_alu instid0(VALU_DEP_1)
	v_add_nc_u32_e32 v19, v19, v20
	ds_store_b32 v18, v19
.LBB1_4:
	s_or_b32 exec_lo, exec_lo, s0
	v_dual_mov_b32 v18, 0 :: v_dual_mov_b32 v19, 0
	s_mov_b32 s0, exec_lo
	s_waitcnt lgkmcnt(0)
	s_barrier
	buffer_gl0_inv
	v_cmpx_lt_u32_e32 31, v0
	s_cbranch_execz .LBB1_6
; %bb.5:
	v_lshl_add_u32 v17, v17, 2, -4
	ds_load_b32 v19, v17
.LBB1_6:
	s_or_b32 exec_lo, exec_lo, s0
	v_add_nc_u32_e32 v17, -1, v15
	s_mov_b32 s9, 0
	s_waitcnt lgkmcnt(0)
	v_add_nc_u32_e32 v16, v19, v16
	s_delay_alu instid0(VALU_DEP_2) | instskip(SKIP_2) | instid1(VALU_DEP_2)
	v_cmp_gt_i32_e32 vcc_lo, 0, v17
	v_cndmask_b32_e32 v17, v17, v15, vcc_lo
	v_cmp_eq_u32_e32 vcc_lo, 0, v15
	v_lshlrev_b32_e32 v17, 2, v17
	ds_bpermute_b32 v16, v17, v16
	v_mul_u32_u24_e32 v17, 9, v0
	s_waitcnt lgkmcnt(0)
	v_cndmask_b32_e32 v15, v16, v19, vcc_lo
	v_cmp_ne_u32_e32 vcc_lo, 0, v0
	ds_load_b32 v16, v18 offset:28
	v_lshlrev_b32_e32 v18, 2, v17
	v_lshlrev_b32_e32 v17, 1, v17
	s_waitcnt lgkmcnt(0)
	v_cndmask_b32_e32 v15, 0, v15, vcc_lo
	s_barrier
	v_add_nc_u32_e32 v19, 0x1204, v18
	v_add_nc_u32_e32 v21, 0x1214, v18
	;; [unrolled: 1-line block ×4, first 2 shown]
	buffer_gl0_inv
	v_add_nc_u32_e32 v10, v9, v10
	s_delay_alu instid0(VALU_DEP_1) | instskip(SKIP_2) | instid1(VALU_DEP_3)
	v_add_nc_u32_e32 v11, v10, v11
	v_cmp_eq_u32_e32 vcc_lo, 0, v16
	v_readfirstlane_b32 s10, v16
	v_add_nc_u32_e32 v12, v11, v12
	s_and_b32 vcc_lo, exec_lo, vcc_lo
	ds_store_b32 v18, v15 offset:4608
	ds_store_b32 v17, v5
	ds_store_2addr_b32 v19, v9, v10 offset1:1
	ds_store_b32 v17, v6 offset:4
	ds_store_2addr_b32 v20, v11, v12 offset1:1
	ds_store_b32 v17, v7 offset:8
	v_add_nc_u32_e32 v1, v12, v1
	s_delay_alu instid0(VALU_DEP_1) | instskip(NEXT) | instid1(VALU_DEP_1)
	v_add_nc_u32_e32 v2, v1, v2
	v_add_nc_u32_e32 v3, v2, v3
	s_delay_alu instid0(VALU_DEP_1)
	v_add_nc_u32_e32 v4, v3, v4
	ds_store_2addr_b32 v21, v1, v2 offset1:1
	ds_store_b32 v17, v8 offset:12
	ds_store_b32 v18, v3 offset:4636
	ds_store_b16 v17, v14 offset:16
	ds_store_b32 v18, v4 offset:4640
	s_waitcnt lgkmcnt(0)
	s_barrier
	buffer_gl0_inv
	s_cbranch_vccnz .LBB1_49
; %bb.7:
	v_mul_lo_u32 v1, v13, 7
	v_mov_b32_e32 v2, 0
	v_mul_u32_u24_e32 v0, 7, v0
	s_mov_b32 s8, s9
	v_mov_b32_e32 v15, 0x480
	s_delay_alu instid0(VALU_DEP_4)
	v_dual_mov_b32 v16, 0x240 :: v_dual_add_nc_u32 v5, 1, v1
	ds_load_b32 v4, v2 offset:9216
	v_lshlrev_b64 v[10:11], 1, v[1:2]
	v_lshlrev_b64 v[2:3], 2, v[1:2]
	v_add_nc_u32_e32 v6, 2, v1
	v_add_nc_u32_e32 v7, 3, v1
	;; [unrolled: 1-line block ×4, first 2 shown]
	v_add_co_u32 v10, vcc_lo, s4, v10
	v_add_co_ci_u32_e32 v11, vcc_lo, s5, v11, vcc_lo
	v_add_co_u32 v13, vcc_lo, s6, v2
	v_add_nc_u32_e32 v12, 6, v1
	v_add_co_ci_u32_e32 v14, vcc_lo, s7, v3, vcc_lo
	s_mov_b32 s7, s10
	s_branch .LBB1_9
.LBB1_8:                                ;   in Loop: Header=BB1_9 Depth=1
	s_or_b32 exec_lo, exec_lo, s0
	s_addk_i32 s8, 0x700
	s_addk_i32 s7, 0xf900
	s_cmp_lt_u32 s8, s10
	s_cbranch_scc0 .LBB1_49
.LBB1_9:                                ; =>This Inner Loop Header: Depth=1
	v_add_nc_u32_e32 v17, s8, v0
	s_waitcnt lgkmcnt(0)
	s_delay_alu instid0(VALU_DEP_1) | instskip(SKIP_3) | instid1(VALU_DEP_3)
	v_cmp_gt_u32_e32 vcc_lo, v4, v17
	v_cndmask_b32_e32 v3, 0x6c0, v16, vcc_lo
	v_cndmask_b32_e64 v2, 0x481, 0, vcc_lo
	v_cndmask_b32_e32 v19, 0x900, v15, vcc_lo
	v_lshlrev_b32_e32 v18, 2, v3
	v_or_b32_e32 v20, 1, v3
	ds_load_b32 v18, v18 offset:4608
	s_waitcnt lgkmcnt(0)
	v_cmp_gt_u32_e32 vcc_lo, v18, v17
	v_dual_cndmask_b32 v2, v20, v2 :: v_dual_cndmask_b32 v3, v19, v3
	s_delay_alu instid0(VALU_DEP_1) | instskip(NEXT) | instid1(VALU_DEP_1)
	v_sub_nc_u32_e32 v18, v3, v2
	v_lshrrev_b16 v19, 15, v18
	s_delay_alu instid0(VALU_DEP_1) | instskip(NEXT) | instid1(VALU_DEP_1)
	v_add_nc_u16 v18, v18, v19
	v_ashrrev_i16 v18, 1, v18
	s_delay_alu instid0(VALU_DEP_1) | instskip(NEXT) | instid1(VALU_DEP_1)
	v_bfe_i32 v18, v18, 0, 16
	v_add_nc_u32_e32 v18, v2, v18
	s_delay_alu instid0(VALU_DEP_1) | instskip(NEXT) | instid1(VALU_DEP_1)
	v_min_i32_e32 v18, 0x8ff, v18
	v_lshlrev_b32_e32 v19, 2, v18
	v_add_nc_u32_e32 v20, 1, v18
	ds_load_b32 v19, v19 offset:4608
	s_waitcnt lgkmcnt(0)
	v_cmp_gt_u32_e32 vcc_lo, v19, v17
	v_cndmask_b32_e32 v2, v20, v2, vcc_lo
	v_cndmask_b32_e32 v3, v3, v18, vcc_lo
	s_delay_alu instid0(VALU_DEP_1) | instskip(NEXT) | instid1(VALU_DEP_1)
	v_sub_nc_u32_e32 v18, v3, v2
	v_lshrrev_b16 v19, 15, v18
	s_delay_alu instid0(VALU_DEP_1) | instskip(NEXT) | instid1(VALU_DEP_1)
	v_add_nc_u16 v18, v18, v19
	v_ashrrev_i16 v18, 1, v18
	s_delay_alu instid0(VALU_DEP_1) | instskip(NEXT) | instid1(VALU_DEP_1)
	v_bfe_i32 v18, v18, 0, 16
	v_add_nc_u32_e32 v18, v2, v18
	s_delay_alu instid0(VALU_DEP_1) | instskip(NEXT) | instid1(VALU_DEP_1)
	v_min_i32_e32 v18, 0x8ff, v18
	v_lshlrev_b32_e32 v19, 2, v18
	v_add_nc_u32_e32 v20, 1, v18
	ds_load_b32 v19, v19 offset:4608
	s_waitcnt lgkmcnt(0)
	v_cmp_gt_u32_e32 vcc_lo, v19, v17
	v_cndmask_b32_e32 v2, v20, v2, vcc_lo
	v_cndmask_b32_e32 v3, v3, v18, vcc_lo
	;; [unrolled: 18-line block ×7, first 2 shown]
	s_delay_alu instid0(VALU_DEP_1) | instskip(NEXT) | instid1(VALU_DEP_1)
	v_sub_nc_u32_e32 v18, v3, v2
	v_lshrrev_b32_e32 v19, 31, v18
	s_delay_alu instid0(VALU_DEP_1) | instskip(NEXT) | instid1(VALU_DEP_1)
	v_add_nc_u32_e32 v18, v18, v19
	v_ashrrev_i32_e32 v18, 1, v18
	s_delay_alu instid0(VALU_DEP_1) | instskip(NEXT) | instid1(VALU_DEP_1)
	v_add_nc_u32_e32 v18, v18, v2
	v_min_i32_e32 v18, 0x8ff, v18
	s_delay_alu instid0(VALU_DEP_1)
	v_lshlrev_b32_e32 v19, 2, v18
	v_add_nc_u32_e32 v20, 1, v18
	ds_load_b32 v19, v19 offset:4608
	s_waitcnt lgkmcnt(0)
	v_cmp_gt_u32_e32 vcc_lo, v19, v17
	v_cndmask_b32_e32 v2, v20, v2, vcc_lo
	v_cndmask_b32_e32 v3, v3, v18, vcc_lo
	s_delay_alu instid0(VALU_DEP_1) | instskip(NEXT) | instid1(VALU_DEP_1)
	v_sub_nc_u32_e32 v18, v3, v2
	v_lshrrev_b32_e32 v19, 31, v18
	s_delay_alu instid0(VALU_DEP_1) | instskip(NEXT) | instid1(VALU_DEP_1)
	v_add_nc_u32_e32 v18, v18, v19
	v_ashrrev_i32_e32 v18, 1, v18
	s_delay_alu instid0(VALU_DEP_1) | instskip(NEXT) | instid1(VALU_DEP_1)
	v_add_nc_u32_e32 v18, v18, v2
	v_min_i32_e32 v18, 0x8ff, v18
	s_delay_alu instid0(VALU_DEP_1)
	v_lshlrev_b32_e32 v19, 2, v18
	v_add_nc_u32_e32 v20, 1, v18
	ds_load_b32 v19, v19 offset:4608
	s_waitcnt lgkmcnt(0)
	v_cmp_gt_u32_e32 vcc_lo, v19, v17
	v_cndmask_b32_e32 v2, v20, v2, vcc_lo
	v_cndmask_b32_e32 v3, v3, v18, vcc_lo
	s_delay_alu instid0(VALU_DEP_1) | instskip(NEXT) | instid1(VALU_DEP_1)
	v_sub_nc_u32_e32 v18, v3, v2
	v_lshrrev_b32_e32 v19, 31, v18
	s_delay_alu instid0(VALU_DEP_1) | instskip(NEXT) | instid1(VALU_DEP_1)
	v_add_nc_u32_e32 v18, v18, v19
	v_ashrrev_i32_e32 v18, 1, v18
	s_delay_alu instid0(VALU_DEP_1) | instskip(NEXT) | instid1(VALU_DEP_1)
	v_add_nc_u32_e32 v18, v18, v2
	v_min_i32_e32 v18, 0x8ff, v18
	s_delay_alu instid0(VALU_DEP_1)
	v_lshlrev_b32_e32 v19, 2, v18
	v_add_nc_u32_e32 v20, 1, v18
	ds_load_b32 v19, v19 offset:4608
	s_waitcnt lgkmcnt(0)
	v_cmp_gt_u32_e32 vcc_lo, v19, v17
	v_dual_cndmask_b32 v2, v20, v2 :: v_dual_add_nc_u32 v19, 1, v17
	v_cndmask_b32_e32 v3, v3, v18, vcc_lo
	s_delay_alu instid0(VALU_DEP_1) | instskip(NEXT) | instid1(VALU_DEP_1)
	v_sub_nc_u32_e32 v3, v3, v2
	v_lshrrev_b32_e32 v18, 31, v3
	s_delay_alu instid0(VALU_DEP_1) | instskip(NEXT) | instid1(VALU_DEP_1)
	v_add_nc_u32_e32 v3, v3, v18
	v_ashrrev_i32_e32 v3, 1, v3
	s_delay_alu instid0(VALU_DEP_1) | instskip(NEXT) | instid1(VALU_DEP_1)
	v_add_nc_u32_e32 v3, v3, v2
	v_min_i32_e32 v3, 0x8ff, v3
	s_delay_alu instid0(VALU_DEP_1)
	v_lshlrev_b32_e32 v18, 2, v3
	v_add_nc_u32_e32 v3, 1, v3
	ds_load_b32 v18, v18 offset:4608
	s_waitcnt lgkmcnt(0)
	v_cmp_gt_u32_e32 vcc_lo, v18, v17
	v_cndmask_b32_e32 v28, v3, v2, vcc_lo
	s_delay_alu instid0(VALU_DEP_1) | instskip(SKIP_1) | instid1(VALU_DEP_2)
	v_lshlrev_b32_e32 v20, 2, v28
	v_lshl_add_u32 v18, v28, 1, -2
	v_add_nc_u32_e32 v2, 0x11fc, v20
	ds_load_u16 v23, v18
	ds_load_2addr_b32 v[2:3], v2 offset1:1
	s_waitcnt lgkmcnt(1)
	v_mov_b32_e32 v24, v23
	s_waitcnt lgkmcnt(0)
	v_sub_nc_u32_e32 v18, v17, v2
	v_cmp_eq_u32_e32 vcc_lo, v19, v3
	s_delay_alu instid0(VALU_DEP_2)
	v_mov_b32_e32 v19, v18
	s_and_saveexec_b32 s0, vcc_lo
	s_cbranch_execz .LBB1_11
; %bb.10:                               ;   in Loop: Header=BB1_9 Depth=1
	v_lshlrev_b32_e32 v2, 1, v28
	v_add_nc_u32_e32 v28, 1, v28
	v_sub_nc_u32_e32 v19, v17, v3
	ds_load_b32 v20, v20 offset:4612
	ds_load_u16 v24, v2
	s_waitcnt lgkmcnt(1)
	v_mov_b32_e32 v3, v20
.LBB1_11:                               ;   in Loop: Header=BB1_9 Depth=1
	s_or_b32 exec_lo, exec_lo, s0
	v_add_nc_u32_e32 v2, 2, v17
	v_mov_b32_e32 v20, v19
	s_waitcnt lgkmcnt(0)
	v_mov_b32_e32 v26, v24
	s_mov_b32 s0, exec_lo
	v_cmpx_eq_u32_e64 v2, v3
	s_cbranch_execz .LBB1_13
; %bb.12:                               ;   in Loop: Header=BB1_9 Depth=1
	v_add_nc_u32_e32 v2, 1, v28
	v_lshlrev_b32_e32 v21, 1, v28
	s_delay_alu instid0(VALU_DEP_2)
	v_lshlrev_b32_e32 v20, 2, v2
	ds_load_b32 v22, v20 offset:4608
	ds_load_u16 v26, v21
	v_sub_nc_u32_e32 v20, v17, v3
	s_waitcnt lgkmcnt(1)
	v_mov_b32_e32 v3, v22
	v_mov_b32_e32 v28, v2
.LBB1_13:                               ;   in Loop: Header=BB1_9 Depth=1
	s_or_b32 exec_lo, exec_lo, s0
	v_dual_mov_b32 v21, v20 :: v_dual_add_nc_u32 v2, 3, v17
	s_waitcnt lgkmcnt(0)
	v_mov_b32_e32 v29, v26
	s_mov_b32 s0, exec_lo
	s_delay_alu instid0(VALU_DEP_2)
	v_cmpx_eq_u32_e64 v2, v3
	s_cbranch_execz .LBB1_15
; %bb.14:                               ;   in Loop: Header=BB1_9 Depth=1
	v_lshl_add_u32 v2, v28, 2, 0x1200
	v_lshlrev_b32_e32 v21, 1, v28
	v_add_nc_u32_e32 v28, 1, v28
	ds_load_2addr_b32 v[2:3], v2 offset1:1
	ds_load_u16 v29, v21
	s_waitcnt lgkmcnt(1)
	v_sub_nc_u32_e32 v21, v17, v2
.LBB1_15:                               ;   in Loop: Header=BB1_9 Depth=1
	s_or_b32 exec_lo, exec_lo, s0
	v_add_nc_u32_e32 v2, 4, v17
	s_delay_alu instid0(VALU_DEP_2)
	v_mov_b32_e32 v22, v21
	s_waitcnt lgkmcnt(0)
	v_mov_b32_e32 v30, v29
	s_mov_b32 s0, exec_lo
	v_cmpx_eq_u32_e64 v2, v3
	s_cbranch_execz .LBB1_17
; %bb.16:                               ;   in Loop: Header=BB1_9 Depth=1
	v_lshl_add_u32 v2, v28, 2, 0x1200
	v_lshlrev_b32_e32 v22, 1, v28
	v_add_nc_u32_e32 v28, 1, v28
	ds_load_2addr_b32 v[2:3], v2 offset1:1
	ds_load_u16 v30, v22
	s_waitcnt lgkmcnt(1)
	v_sub_nc_u32_e32 v22, v17, v2
.LBB1_17:                               ;   in Loop: Header=BB1_9 Depth=1
	s_or_b32 exec_lo, exec_lo, s0
	s_delay_alu instid0(VALU_DEP_1) | instskip(SKIP_3) | instid1(VALU_DEP_2)
	v_dual_mov_b32 v25, v22 :: v_dual_add_nc_u32 v2, 5, v17
	s_waitcnt lgkmcnt(0)
	v_mov_b32_e32 v31, v30
	s_mov_b32 s0, exec_lo
	v_cmpx_eq_u32_e64 v2, v3
	s_cbranch_execz .LBB1_19
; %bb.18:                               ;   in Loop: Header=BB1_9 Depth=1
	v_lshl_add_u32 v2, v28, 2, 0x1200
	v_lshlrev_b32_e32 v25, 1, v28
	v_add_nc_u32_e32 v28, 1, v28
	ds_load_2addr_b32 v[2:3], v2 offset1:1
	ds_load_u16 v31, v25
	s_waitcnt lgkmcnt(1)
	v_sub_nc_u32_e32 v25, v17, v2
.LBB1_19:                               ;   in Loop: Header=BB1_9 Depth=1
	s_or_b32 exec_lo, exec_lo, s0
	s_delay_alu instid0(VALU_DEP_1) | instskip(SKIP_3) | instid1(VALU_DEP_2)
	v_dual_mov_b32 v27, v25 :: v_dual_add_nc_u32 v2, 6, v17
	s_waitcnt lgkmcnt(0)
	v_mov_b32_e32 v32, v31
	s_mov_b32 s0, exec_lo
	v_cmpx_eq_u32_e64 v2, v3
	s_cbranch_execz .LBB1_21
; %bb.20:                               ;   in Loop: Header=BB1_9 Depth=1
	v_lshlrev_b32_e32 v2, 2, v28
	v_lshlrev_b32_e32 v3, 1, v28
	ds_load_b32 v2, v2 offset:4608
	ds_load_u16 v32, v3
	s_waitcnt lgkmcnt(1)
	v_sub_nc_u32_e32 v27, v17, v2
.LBB1_21:                               ;   in Loop: Header=BB1_9 Depth=1
	s_or_b32 exec_lo, exec_lo, s0
	s_lshl_b64 s[0:1], s[8:9], 1
	s_min_u32 s5, s7, 0x700
	v_add_co_u32 v2, vcc_lo, v10, s0
	v_add_co_ci_u32_e32 v3, vcc_lo, s1, v11, vcc_lo
	v_cmp_gt_u32_e32 vcc_lo, s5, v1
	s_and_saveexec_b32 s0, vcc_lo
	s_cbranch_execnz .LBB1_36
; %bb.22:                               ;   in Loop: Header=BB1_9 Depth=1
	s_or_b32 exec_lo, exec_lo, s0
	v_cmp_gt_u32_e64 s0, s5, v5
	s_delay_alu instid0(VALU_DEP_1)
	s_and_saveexec_b32 s1, s0
	s_cbranch_execnz .LBB1_37
.LBB1_23:                               ;   in Loop: Header=BB1_9 Depth=1
	s_or_b32 exec_lo, exec_lo, s1
	v_cmp_gt_u32_e64 s1, s5, v6
	s_delay_alu instid0(VALU_DEP_1)
	s_and_saveexec_b32 s2, s1
	s_cbranch_execnz .LBB1_38
.LBB1_24:                               ;   in Loop: Header=BB1_9 Depth=1
	s_or_b32 exec_lo, exec_lo, s2
	v_cmp_gt_u32_e64 s2, s5, v7
	s_delay_alu instid0(VALU_DEP_1)
	s_and_saveexec_b32 s3, s2
	s_cbranch_execnz .LBB1_39
.LBB1_25:                               ;   in Loop: Header=BB1_9 Depth=1
	s_or_b32 exec_lo, exec_lo, s3
	v_cmp_gt_u32_e64 s3, s5, v8
	s_delay_alu instid0(VALU_DEP_1)
	s_and_saveexec_b32 s4, s3
	s_cbranch_execnz .LBB1_40
.LBB1_26:                               ;   in Loop: Header=BB1_9 Depth=1
	s_or_b32 exec_lo, exec_lo, s4
	v_cmp_gt_u32_e64 s4, s5, v9
	s_delay_alu instid0(VALU_DEP_1)
	s_and_saveexec_b32 s6, s4
	s_cbranch_execnz .LBB1_41
.LBB1_27:                               ;   in Loop: Header=BB1_9 Depth=1
	s_or_b32 exec_lo, exec_lo, s6
	v_cmp_gt_u32_e64 s5, s5, v12
	s_delay_alu instid0(VALU_DEP_1)
	s_and_saveexec_b32 s6, s5
	s_cbranch_execz .LBB1_29
.LBB1_28:                               ;   in Loop: Header=BB1_9 Depth=1
	s_waitcnt lgkmcnt(0)
	global_store_b16 v[2:3], v32, off offset:12
.LBB1_29:                               ;   in Loop: Header=BB1_9 Depth=1
	s_or_b32 exec_lo, exec_lo, s6
	s_lshl_b64 s[12:13], s[8:9], 2
	s_delay_alu instid0(SALU_CYCLE_1) | instskip(NEXT) | instid1(VALU_DEP_1)
	v_add_co_u32 v2, s6, v13, s12
	v_add_co_ci_u32_e64 v3, s6, s13, v14, s6
	s_and_saveexec_b32 s6, vcc_lo
	s_cbranch_execnz .LBB1_42
; %bb.30:                               ;   in Loop: Header=BB1_9 Depth=1
	s_or_b32 exec_lo, exec_lo, s6
	s_and_saveexec_b32 s6, s0
	s_cbranch_execnz .LBB1_43
.LBB1_31:                               ;   in Loop: Header=BB1_9 Depth=1
	s_or_b32 exec_lo, exec_lo, s6
	s_and_saveexec_b32 s0, s1
	s_cbranch_execnz .LBB1_44
.LBB1_32:                               ;   in Loop: Header=BB1_9 Depth=1
	s_or_b32 exec_lo, exec_lo, s0
	s_and_saveexec_b32 s0, s2
	s_cbranch_execnz .LBB1_45
.LBB1_33:                               ;   in Loop: Header=BB1_9 Depth=1
	s_or_b32 exec_lo, exec_lo, s0
	s_and_saveexec_b32 s0, s3
	s_cbranch_execnz .LBB1_46
.LBB1_34:                               ;   in Loop: Header=BB1_9 Depth=1
	s_or_b32 exec_lo, exec_lo, s0
	s_and_saveexec_b32 s0, s4
	s_cbranch_execnz .LBB1_47
.LBB1_35:                               ;   in Loop: Header=BB1_9 Depth=1
	s_or_b32 exec_lo, exec_lo, s0
	s_and_saveexec_b32 s0, s5
	s_cbranch_execz .LBB1_8
	s_branch .LBB1_48
.LBB1_36:                               ;   in Loop: Header=BB1_9 Depth=1
	global_store_b16 v[2:3], v23, off
	s_or_b32 exec_lo, exec_lo, s0
	v_cmp_gt_u32_e64 s0, s5, v5
	s_delay_alu instid0(VALU_DEP_1)
	s_and_saveexec_b32 s1, s0
	s_cbranch_execz .LBB1_23
.LBB1_37:                               ;   in Loop: Header=BB1_9 Depth=1
	global_store_b16 v[2:3], v24, off offset:2
	s_or_b32 exec_lo, exec_lo, s1
	v_cmp_gt_u32_e64 s1, s5, v6
	s_delay_alu instid0(VALU_DEP_1)
	s_and_saveexec_b32 s2, s1
	s_cbranch_execz .LBB1_24
.LBB1_38:                               ;   in Loop: Header=BB1_9 Depth=1
	global_store_b16 v[2:3], v26, off offset:4
	s_or_b32 exec_lo, exec_lo, s2
	v_cmp_gt_u32_e64 s2, s5, v7
	s_delay_alu instid0(VALU_DEP_1)
	s_and_saveexec_b32 s3, s2
	s_cbranch_execz .LBB1_25
.LBB1_39:                               ;   in Loop: Header=BB1_9 Depth=1
	global_store_b16 v[2:3], v29, off offset:6
	s_or_b32 exec_lo, exec_lo, s3
	v_cmp_gt_u32_e64 s3, s5, v8
	s_delay_alu instid0(VALU_DEP_1)
	s_and_saveexec_b32 s4, s3
	s_cbranch_execz .LBB1_26
.LBB1_40:                               ;   in Loop: Header=BB1_9 Depth=1
	global_store_b16 v[2:3], v30, off offset:8
	s_or_b32 exec_lo, exec_lo, s4
	v_cmp_gt_u32_e64 s4, s5, v9
	s_delay_alu instid0(VALU_DEP_1)
	s_and_saveexec_b32 s6, s4
	s_cbranch_execz .LBB1_27
.LBB1_41:                               ;   in Loop: Header=BB1_9 Depth=1
	global_store_b16 v[2:3], v31, off offset:10
	s_or_b32 exec_lo, exec_lo, s6
	v_cmp_gt_u32_e64 s5, s5, v12
	s_delay_alu instid0(VALU_DEP_1)
	s_and_saveexec_b32 s6, s5
	s_cbranch_execnz .LBB1_28
	s_branch .LBB1_29
.LBB1_42:                               ;   in Loop: Header=BB1_9 Depth=1
	global_store_b32 v[2:3], v18, off
	s_or_b32 exec_lo, exec_lo, s6
	s_and_saveexec_b32 s6, s0
	s_cbranch_execz .LBB1_31
.LBB1_43:                               ;   in Loop: Header=BB1_9 Depth=1
	v_add_nc_u32_e32 v17, 1, v19
	global_store_b32 v[2:3], v17, off offset:4
	s_or_b32 exec_lo, exec_lo, s6
	s_and_saveexec_b32 s0, s1
	s_cbranch_execz .LBB1_32
.LBB1_44:                               ;   in Loop: Header=BB1_9 Depth=1
	v_add_nc_u32_e32 v17, 2, v20
	global_store_b32 v[2:3], v17, off offset:8
	s_or_b32 exec_lo, exec_lo, s0
	s_and_saveexec_b32 s0, s2
	s_cbranch_execz .LBB1_33
.LBB1_45:                               ;   in Loop: Header=BB1_9 Depth=1
	v_add_nc_u32_e32 v17, 3, v21
	global_store_b32 v[2:3], v17, off offset:12
	s_or_b32 exec_lo, exec_lo, s0
	s_and_saveexec_b32 s0, s3
	s_cbranch_execz .LBB1_34
.LBB1_46:                               ;   in Loop: Header=BB1_9 Depth=1
	v_add_nc_u32_e32 v17, 4, v22
	global_store_b32 v[2:3], v17, off offset:16
	s_or_b32 exec_lo, exec_lo, s0
	s_and_saveexec_b32 s0, s4
	s_cbranch_execz .LBB1_35
.LBB1_47:                               ;   in Loop: Header=BB1_9 Depth=1
	v_add_nc_u32_e32 v17, 5, v25
	global_store_b32 v[2:3], v17, off offset:20
	s_or_b32 exec_lo, exec_lo, s0
	s_and_saveexec_b32 s0, s5
	s_cbranch_execz .LBB1_8
.LBB1_48:                               ;   in Loop: Header=BB1_9 Depth=1
	v_add_nc_u32_e32 v17, 6, v27
	global_store_b32 v[2:3], v17, off offset:24
	s_branch .LBB1_8
.LBB1_49:
	s_nop 0
	s_sendmsg sendmsg(MSG_DEALLOC_VGPRS)
	s_endpgm
	.section	.rodata,"a",@progbits
	.p2align	6, 0x0
	.amdhsa_kernel _Z30block_run_length_decode_kernelI6__halfiLj256ELj9ELj7EEvPKT_PKT0_PS1_PS4_
		.amdhsa_group_segment_fixed_size 13824
		.amdhsa_private_segment_fixed_size 0
		.amdhsa_kernarg_size 32
		.amdhsa_user_sgpr_count 15
		.amdhsa_user_sgpr_dispatch_ptr 0
		.amdhsa_user_sgpr_queue_ptr 0
		.amdhsa_user_sgpr_kernarg_segment_ptr 1
		.amdhsa_user_sgpr_dispatch_id 0
		.amdhsa_user_sgpr_private_segment_size 0
		.amdhsa_wavefront_size32 1
		.amdhsa_uses_dynamic_stack 0
		.amdhsa_enable_private_segment 0
		.amdhsa_system_sgpr_workgroup_id_x 1
		.amdhsa_system_sgpr_workgroup_id_y 0
		.amdhsa_system_sgpr_workgroup_id_z 0
		.amdhsa_system_sgpr_workgroup_info 0
		.amdhsa_system_vgpr_workitem_id 0
		.amdhsa_next_free_vgpr 33
		.amdhsa_next_free_sgpr 16
		.amdhsa_reserve_vcc 1
		.amdhsa_float_round_mode_32 0
		.amdhsa_float_round_mode_16_64 0
		.amdhsa_float_denorm_mode_32 3
		.amdhsa_float_denorm_mode_16_64 3
		.amdhsa_dx10_clamp 1
		.amdhsa_ieee_mode 1
		.amdhsa_fp16_overflow 0
		.amdhsa_workgroup_processor_mode 1
		.amdhsa_memory_ordered 1
		.amdhsa_forward_progress 0
		.amdhsa_shared_vgpr_count 0
		.amdhsa_exception_fp_ieee_invalid_op 0
		.amdhsa_exception_fp_denorm_src 0
		.amdhsa_exception_fp_ieee_div_zero 0
		.amdhsa_exception_fp_ieee_overflow 0
		.amdhsa_exception_fp_ieee_underflow 0
		.amdhsa_exception_fp_ieee_inexact 0
		.amdhsa_exception_int_div_zero 0
	.end_amdhsa_kernel
	.section	.text._Z30block_run_length_decode_kernelI6__halfiLj256ELj9ELj7EEvPKT_PKT0_PS1_PS4_,"axG",@progbits,_Z30block_run_length_decode_kernelI6__halfiLj256ELj9ELj7EEvPKT_PKT0_PS1_PS4_,comdat
.Lfunc_end1:
	.size	_Z30block_run_length_decode_kernelI6__halfiLj256ELj9ELj7EEvPKT_PKT0_PS1_PS4_, .Lfunc_end1-_Z30block_run_length_decode_kernelI6__halfiLj256ELj9ELj7EEvPKT_PKT0_PS1_PS4_
                                        ; -- End function
	.section	.AMDGPU.csdata,"",@progbits
; Kernel info:
; codeLenInByte = 3244
; NumSgprs: 18
; NumVgprs: 33
; ScratchSize: 0
; MemoryBound: 0
; FloatMode: 240
; IeeeMode: 1
; LDSByteSize: 13824 bytes/workgroup (compile time only)
; SGPRBlocks: 2
; VGPRBlocks: 4
; NumSGPRsForWavesPerEU: 18
; NumVGPRsForWavesPerEU: 33
; Occupancy: 16
; WaveLimiterHint : 0
; COMPUTE_PGM_RSRC2:SCRATCH_EN: 0
; COMPUTE_PGM_RSRC2:USER_SGPR: 15
; COMPUTE_PGM_RSRC2:TRAP_HANDLER: 0
; COMPUTE_PGM_RSRC2:TGID_X_EN: 1
; COMPUTE_PGM_RSRC2:TGID_Y_EN: 0
; COMPUTE_PGM_RSRC2:TGID_Z_EN: 0
; COMPUTE_PGM_RSRC2:TIDIG_COMP_CNT: 0
	.section	.text._Z30block_run_length_decode_kernelIfiLj256ELj9ELj7EEvPKT_PKT0_PS0_PS3_,"axG",@progbits,_Z30block_run_length_decode_kernelIfiLj256ELj9ELj7EEvPKT_PKT0_PS0_PS3_,comdat
	.protected	_Z30block_run_length_decode_kernelIfiLj256ELj9ELj7EEvPKT_PKT0_PS0_PS3_ ; -- Begin function _Z30block_run_length_decode_kernelIfiLj256ELj9ELj7EEvPKT_PKT0_PS0_PS3_
	.globl	_Z30block_run_length_decode_kernelIfiLj256ELj9ELj7EEvPKT_PKT0_PS0_PS3_
	.p2align	8
	.type	_Z30block_run_length_decode_kernelIfiLj256ELj9ELj7EEvPKT_PKT0_PS0_PS3_,@function
_Z30block_run_length_decode_kernelIfiLj256ELj9ELj7EEvPKT_PKT0_PS0_PS3_: ; @_Z30block_run_length_decode_kernelIfiLj256ELj9ELj7EEvPKT_PKT0_PS0_PS3_
; %bb.0:
	s_load_b256 s[0:7], s[0:1], 0x0
	v_lshl_or_b32 v17, s15, 8, v0
	v_mov_b32_e32 v2, 0
	v_or_b32_e32 v23, 31, v0
	s_delay_alu instid0(VALU_DEP_3) | instskip(NEXT) | instid1(VALU_DEP_1)
	v_lshl_add_u32 v1, v17, 3, v17
	v_lshlrev_b64 v[5:6], 2, v[1:2]
	s_waitcnt lgkmcnt(0)
	s_delay_alu instid0(VALU_DEP_1) | instskip(NEXT) | instid1(VALU_DEP_2)
	v_add_co_u32 v7, vcc_lo, s2, v5
	v_add_co_ci_u32_e32 v8, vcc_lo, s3, v6, vcc_lo
	v_add_co_u32 v9, vcc_lo, s0, v5
	v_add_co_ci_u32_e32 v10, vcc_lo, s1, v6, vcc_lo
	s_clause 0x2
	global_load_b128 v[13:16], v[7:8], off
	global_load_b128 v[1:4], v[7:8], off offset:16
	global_load_b32 v20, v[7:8], off offset:32
	s_mov_b32 s0, exec_lo
	s_clause 0x2
	global_load_b32 v18, v[9:10], off offset:32
	global_load_b128 v[5:8], v[9:10], off offset:16
	global_load_b128 v[9:12], v[9:10], off
	s_waitcnt vmcnt(5)
	v_add3_u32 v19, v14, v13, v15
	s_waitcnt vmcnt(4)
	s_delay_alu instid0(VALU_DEP_1) | instskip(NEXT) | instid1(VALU_DEP_1)
	v_add3_u32 v19, v19, v16, v1
	v_add3_u32 v21, v19, v2, v3
	v_mbcnt_lo_u32_b32 v19, -1, 0
	s_waitcnt vmcnt(3)
	s_delay_alu instid0(VALU_DEP_2) | instskip(NEXT) | instid1(VALU_DEP_2)
	v_add3_u32 v20, v21, v4, v20
	v_and_b32_e32 v21, 15, v19
	s_delay_alu instid0(VALU_DEP_2) | instskip(NEXT) | instid1(VALU_DEP_2)
	v_mov_b32_dpp v22, v20 row_shr:1 row_mask:0xf bank_mask:0xf
	v_cmp_ne_u32_e32 vcc_lo, 0, v21
	s_delay_alu instid0(VALU_DEP_2) | instskip(SKIP_1) | instid1(VALU_DEP_2)
	v_cndmask_b32_e32 v22, 0, v22, vcc_lo
	v_cmp_lt_u32_e32 vcc_lo, 1, v21
	v_add_nc_u32_e32 v20, v22, v20
	s_delay_alu instid0(VALU_DEP_1) | instskip(NEXT) | instid1(VALU_DEP_1)
	v_mov_b32_dpp v22, v20 row_shr:2 row_mask:0xf bank_mask:0xf
	v_cndmask_b32_e32 v22, 0, v22, vcc_lo
	v_cmp_lt_u32_e32 vcc_lo, 3, v21
	s_delay_alu instid0(VALU_DEP_2) | instskip(NEXT) | instid1(VALU_DEP_1)
	v_add_nc_u32_e32 v20, v20, v22
	v_mov_b32_dpp v22, v20 row_shr:4 row_mask:0xf bank_mask:0xf
	s_delay_alu instid0(VALU_DEP_1) | instskip(SKIP_1) | instid1(VALU_DEP_2)
	v_cndmask_b32_e32 v22, 0, v22, vcc_lo
	v_cmp_lt_u32_e32 vcc_lo, 7, v21
	v_add_nc_u32_e32 v20, v20, v22
	s_delay_alu instid0(VALU_DEP_1) | instskip(NEXT) | instid1(VALU_DEP_1)
	v_mov_b32_dpp v22, v20 row_shr:8 row_mask:0xf bank_mask:0xf
	v_cndmask_b32_e32 v21, 0, v22, vcc_lo
	v_bfe_i32 v22, v19, 4, 1
	s_delay_alu instid0(VALU_DEP_2) | instskip(SKIP_4) | instid1(VALU_DEP_2)
	v_add_nc_u32_e32 v20, v20, v21
	ds_swizzle_b32 v21, v20 offset:swizzle(BROADCAST,32,15)
	s_waitcnt lgkmcnt(0)
	v_and_b32_e32 v22, v22, v21
	v_lshrrev_b32_e32 v21, 5, v0
	v_add_nc_u32_e32 v20, v20, v22
	v_cmpx_eq_u32_e64 v23, v0
	s_cbranch_execz .LBB2_2
; %bb.1:
	s_delay_alu instid0(VALU_DEP_3)
	v_lshlrev_b32_e32 v22, 2, v21
	ds_store_b32 v22, v20
.LBB2_2:
	s_or_b32 exec_lo, exec_lo, s0
	s_delay_alu instid0(SALU_CYCLE_1)
	s_mov_b32 s0, exec_lo
	s_waitcnt vmcnt(0) lgkmcnt(0)
	s_barrier
	buffer_gl0_inv
	v_cmpx_gt_u32_e32 8, v0
	s_cbranch_execz .LBB2_4
; %bb.3:
	v_and_b32_e32 v24, 7, v19
	s_delay_alu instid0(VALU_DEP_1) | instskip(SKIP_4) | instid1(VALU_DEP_1)
	v_cmp_ne_u32_e32 vcc_lo, 0, v24
	v_lshlrev_b32_e32 v22, 2, v0
	ds_load_b32 v23, v22
	s_waitcnt lgkmcnt(0)
	v_mov_b32_dpp v25, v23 row_shr:1 row_mask:0xf bank_mask:0xf
	v_cndmask_b32_e32 v25, 0, v25, vcc_lo
	v_cmp_lt_u32_e32 vcc_lo, 1, v24
	s_delay_alu instid0(VALU_DEP_2) | instskip(NEXT) | instid1(VALU_DEP_1)
	v_add_nc_u32_e32 v23, v25, v23
	v_mov_b32_dpp v25, v23 row_shr:2 row_mask:0xf bank_mask:0xf
	s_delay_alu instid0(VALU_DEP_1) | instskip(SKIP_1) | instid1(VALU_DEP_2)
	v_cndmask_b32_e32 v25, 0, v25, vcc_lo
	v_cmp_lt_u32_e32 vcc_lo, 3, v24
	v_add_nc_u32_e32 v23, v23, v25
	s_delay_alu instid0(VALU_DEP_1) | instskip(NEXT) | instid1(VALU_DEP_1)
	v_mov_b32_dpp v25, v23 row_shr:4 row_mask:0xf bank_mask:0xf
	v_cndmask_b32_e32 v24, 0, v25, vcc_lo
	s_delay_alu instid0(VALU_DEP_1)
	v_add_nc_u32_e32 v23, v23, v24
	ds_store_b32 v22, v23
.LBB2_4:
	s_or_b32 exec_lo, exec_lo, s0
	v_dual_mov_b32 v22, 0 :: v_dual_mov_b32 v23, 0
	s_mov_b32 s0, exec_lo
	s_waitcnt lgkmcnt(0)
	s_barrier
	buffer_gl0_inv
	v_cmpx_lt_u32_e32 31, v0
	s_cbranch_execz .LBB2_6
; %bb.5:
	v_lshl_add_u32 v21, v21, 2, -4
	ds_load_b32 v23, v21
.LBB2_6:
	s_or_b32 exec_lo, exec_lo, s0
	v_add_nc_u32_e32 v21, -1, v19
	s_mov_b32 s9, 0
	s_waitcnt lgkmcnt(0)
	v_add_nc_u32_e32 v20, v23, v20
	s_delay_alu instid0(VALU_DEP_2) | instskip(SKIP_2) | instid1(VALU_DEP_2)
	v_cmp_gt_i32_e32 vcc_lo, 0, v21
	v_cndmask_b32_e32 v21, v21, v19, vcc_lo
	v_cmp_eq_u32_e32 vcc_lo, 0, v19
	v_lshlrev_b32_e32 v21, 2, v21
	ds_bpermute_b32 v20, v21, v20
	v_mul_u32_u24_e32 v21, 9, v0
	s_delay_alu instid0(VALU_DEP_1) | instskip(NEXT) | instid1(VALU_DEP_1)
	v_lshlrev_b32_e32 v21, 2, v21
	v_add_nc_u32_e32 v24, 0x2410, v21
	v_add_nc_u32_e32 v25, 0x2418, v21
	s_waitcnt lgkmcnt(0)
	v_cndmask_b32_e32 v19, v20, v23, vcc_lo
	v_cmp_ne_u32_e32 vcc_lo, 0, v0
	ds_load_b32 v20, v22 offset:28
	v_add_nc_u32_e32 v22, 0x2400, v21
	v_add_nc_u32_e32 v23, 0x2408, v21
	s_waitcnt lgkmcnt(0)
	v_cndmask_b32_e32 v19, 0, v19, vcc_lo
	s_barrier
	buffer_gl0_inv
	ds_store_2addr_b32 v21, v9, v10 offset1:1
	ds_store_2addr_b32 v21, v11, v12 offset0:2 offset1:3
	ds_store_2addr_b32 v21, v5, v6 offset0:4 offset1:5
	;; [unrolled: 1-line block ×3, first 2 shown]
	v_add_nc_u32_e32 v5, 32, v21
	v_add_nc_u32_e32 v13, v19, v13
	s_delay_alu instid0(VALU_DEP_1) | instskip(NEXT) | instid1(VALU_DEP_1)
	v_add_nc_u32_e32 v14, v13, v14
	v_add_nc_u32_e32 v15, v14, v15
	v_cmp_eq_u32_e32 vcc_lo, 0, v20
	v_readfirstlane_b32 s10, v20
	s_delay_alu instid0(VALU_DEP_3) | instskip(SKIP_1) | instid1(VALU_DEP_1)
	v_add_nc_u32_e32 v16, v15, v16
	s_and_b32 vcc_lo, exec_lo, vcc_lo
	v_add_nc_u32_e32 v1, v16, v1
	s_delay_alu instid0(VALU_DEP_1) | instskip(NEXT) | instid1(VALU_DEP_1)
	v_add_nc_u32_e32 v2, v1, v2
	v_add_nc_u32_e32 v3, v2, v3
	s_delay_alu instid0(VALU_DEP_1)
	v_add_nc_u32_e32 v4, v3, v4
	ds_store_2addr_b32 v22, v19, v13 offset1:1
	ds_store_2addr_b32 v23, v14, v15 offset1:1
	;; [unrolled: 1-line block ×4, first 2 shown]
	ds_store_2addr_stride64_b32 v5, v18, v4 offset1:36
	s_waitcnt lgkmcnt(0)
	s_barrier
	buffer_gl0_inv
	s_cbranch_vccnz .LBB2_49
; %bb.7:
	v_mul_lo_u32 v1, v17, 7
	v_mov_b32_e32 v2, 0
	v_mul_u32_u24_e32 v0, 7, v0
	s_mov_b32 s11, s10
	s_mov_b32 s8, s9
	v_mov_b32_e32 v16, 0x480
	v_mov_b32_e32 v17, 0x240
	v_add_nc_u32_e32 v7, 2, v1
	ds_load_b32 v5, v2 offset:13824
	v_lshlrev_b64 v[2:3], 2, v[1:2]
	v_add_nc_u32_e32 v6, 1, v1
	v_add_nc_u32_e32 v8, 3, v1
	;; [unrolled: 1-line block ×5, first 2 shown]
	v_add_co_u32 v11, vcc_lo, s4, v2
	v_add_co_ci_u32_e32 v12, vcc_lo, s5, v3, vcc_lo
	v_add_co_u32 v14, vcc_lo, s6, v2
	v_add_co_ci_u32_e32 v15, vcc_lo, s7, v3, vcc_lo
	s_branch .LBB2_9
.LBB2_8:                                ;   in Loop: Header=BB2_9 Depth=1
	s_or_b32 exec_lo, exec_lo, s0
	s_addk_i32 s8, 0x700
	s_addk_i32 s11, 0xf900
	s_cmp_lt_u32 s8, s10
	s_cbranch_scc0 .LBB2_49
.LBB2_9:                                ; =>This Inner Loop Header: Depth=1
	v_add_nc_u32_e32 v4, s8, v0
	s_waitcnt lgkmcnt(0)
	s_delay_alu instid0(VALU_DEP_1) | instskip(SKIP_2) | instid1(VALU_DEP_2)
	v_cmp_gt_u32_e32 vcc_lo, v5, v4
	v_cndmask_b32_e32 v3, 0x6c0, v17, vcc_lo
	v_cndmask_b32_e64 v2, 0x481, 0, vcc_lo
	v_dual_cndmask_b32 v19, 0x900, v16 :: v_dual_lshlrev_b32 v18, 2, v3
	v_or_b32_e32 v20, 1, v3
	ds_load_b32 v18, v18 offset:9216
	s_waitcnt lgkmcnt(0)
	v_cmp_gt_u32_e32 vcc_lo, v18, v4
	v_dual_cndmask_b32 v2, v20, v2 :: v_dual_cndmask_b32 v3, v19, v3
	s_delay_alu instid0(VALU_DEP_1) | instskip(NEXT) | instid1(VALU_DEP_1)
	v_sub_nc_u32_e32 v18, v3, v2
	v_lshrrev_b16 v19, 15, v18
	s_delay_alu instid0(VALU_DEP_1) | instskip(NEXT) | instid1(VALU_DEP_1)
	v_add_nc_u16 v18, v18, v19
	v_ashrrev_i16 v18, 1, v18
	s_delay_alu instid0(VALU_DEP_1) | instskip(NEXT) | instid1(VALU_DEP_1)
	v_bfe_i32 v18, v18, 0, 16
	v_add_nc_u32_e32 v18, v2, v18
	s_delay_alu instid0(VALU_DEP_1) | instskip(NEXT) | instid1(VALU_DEP_1)
	v_min_i32_e32 v18, 0x8ff, v18
	v_lshlrev_b32_e32 v19, 2, v18
	v_add_nc_u32_e32 v20, 1, v18
	ds_load_b32 v19, v19 offset:9216
	s_waitcnt lgkmcnt(0)
	v_cmp_gt_u32_e32 vcc_lo, v19, v4
	v_cndmask_b32_e32 v2, v20, v2, vcc_lo
	v_cndmask_b32_e32 v3, v3, v18, vcc_lo
	s_delay_alu instid0(VALU_DEP_1) | instskip(NEXT) | instid1(VALU_DEP_1)
	v_sub_nc_u32_e32 v18, v3, v2
	v_lshrrev_b16 v19, 15, v18
	s_delay_alu instid0(VALU_DEP_1) | instskip(NEXT) | instid1(VALU_DEP_1)
	v_add_nc_u16 v18, v18, v19
	v_ashrrev_i16 v18, 1, v18
	s_delay_alu instid0(VALU_DEP_1) | instskip(NEXT) | instid1(VALU_DEP_1)
	v_bfe_i32 v18, v18, 0, 16
	v_add_nc_u32_e32 v18, v2, v18
	s_delay_alu instid0(VALU_DEP_1) | instskip(NEXT) | instid1(VALU_DEP_1)
	v_min_i32_e32 v18, 0x8ff, v18
	v_lshlrev_b32_e32 v19, 2, v18
	v_add_nc_u32_e32 v20, 1, v18
	ds_load_b32 v19, v19 offset:9216
	s_waitcnt lgkmcnt(0)
	v_cmp_gt_u32_e32 vcc_lo, v19, v4
	v_cndmask_b32_e32 v2, v20, v2, vcc_lo
	v_cndmask_b32_e32 v3, v3, v18, vcc_lo
	;; [unrolled: 18-line block ×7, first 2 shown]
	s_delay_alu instid0(VALU_DEP_1) | instskip(NEXT) | instid1(VALU_DEP_1)
	v_sub_nc_u32_e32 v18, v3, v2
	v_lshrrev_b32_e32 v19, 31, v18
	s_delay_alu instid0(VALU_DEP_1) | instskip(NEXT) | instid1(VALU_DEP_1)
	v_add_nc_u32_e32 v18, v18, v19
	v_ashrrev_i32_e32 v18, 1, v18
	s_delay_alu instid0(VALU_DEP_1) | instskip(NEXT) | instid1(VALU_DEP_1)
	v_add_nc_u32_e32 v18, v18, v2
	v_min_i32_e32 v18, 0x8ff, v18
	s_delay_alu instid0(VALU_DEP_1)
	v_lshlrev_b32_e32 v19, 2, v18
	v_add_nc_u32_e32 v20, 1, v18
	ds_load_b32 v19, v19 offset:9216
	s_waitcnt lgkmcnt(0)
	v_cmp_gt_u32_e32 vcc_lo, v19, v4
	v_cndmask_b32_e32 v2, v20, v2, vcc_lo
	v_cndmask_b32_e32 v3, v3, v18, vcc_lo
	s_delay_alu instid0(VALU_DEP_1) | instskip(NEXT) | instid1(VALU_DEP_1)
	v_sub_nc_u32_e32 v18, v3, v2
	v_lshrrev_b32_e32 v19, 31, v18
	s_delay_alu instid0(VALU_DEP_1) | instskip(NEXT) | instid1(VALU_DEP_1)
	v_add_nc_u32_e32 v18, v18, v19
	v_ashrrev_i32_e32 v18, 1, v18
	s_delay_alu instid0(VALU_DEP_1) | instskip(NEXT) | instid1(VALU_DEP_1)
	v_add_nc_u32_e32 v18, v18, v2
	v_min_i32_e32 v18, 0x8ff, v18
	s_delay_alu instid0(VALU_DEP_1)
	v_lshlrev_b32_e32 v19, 2, v18
	v_add_nc_u32_e32 v20, 1, v18
	ds_load_b32 v19, v19 offset:9216
	s_waitcnt lgkmcnt(0)
	v_cmp_gt_u32_e32 vcc_lo, v19, v4
	v_cndmask_b32_e32 v2, v20, v2, vcc_lo
	v_cndmask_b32_e32 v3, v3, v18, vcc_lo
	;; [unrolled: 17-line block ×3, first 2 shown]
	s_delay_alu instid0(VALU_DEP_1) | instskip(NEXT) | instid1(VALU_DEP_1)
	v_sub_nc_u32_e32 v3, v3, v2
	v_lshrrev_b32_e32 v18, 31, v3
	s_delay_alu instid0(VALU_DEP_1) | instskip(NEXT) | instid1(VALU_DEP_1)
	v_add_nc_u32_e32 v3, v3, v18
	v_ashrrev_i32_e32 v3, 1, v3
	s_delay_alu instid0(VALU_DEP_1) | instskip(NEXT) | instid1(VALU_DEP_1)
	v_add_nc_u32_e32 v3, v3, v2
	v_min_i32_e32 v3, 0x8ff, v3
	s_delay_alu instid0(VALU_DEP_1)
	v_lshlrev_b32_e32 v18, 2, v3
	v_add_nc_u32_e32 v3, 1, v3
	ds_load_b32 v18, v18 offset:9216
	s_waitcnt lgkmcnt(0)
	v_cmp_gt_u32_e32 vcc_lo, v18, v4
	v_cndmask_b32_e32 v26, v3, v2, vcc_lo
	s_delay_alu instid0(VALU_DEP_1) | instskip(NEXT) | instid1(VALU_DEP_1)
	v_lshlrev_b32_e32 v20, 2, v26
	v_add_nc_u32_e32 v2, 0x23fc, v20
	v_add_nc_u32_e32 v18, -4, v20
	ds_load_2addr_b32 v[2:3], v2 offset1:1
	ds_load_b32 v23, v18
	v_add_nc_u32_e32 v18, 1, v4
	s_waitcnt lgkmcnt(1)
	v_sub_nc_u32_e32 v19, v4, v2
	s_delay_alu instid0(VALU_DEP_2) | instskip(SKIP_2) | instid1(VALU_DEP_3)
	v_cmp_eq_u32_e32 vcc_lo, v18, v3
	s_waitcnt lgkmcnt(0)
	v_mov_b32_e32 v24, v23
	v_mov_b32_e32 v18, v19
	s_and_saveexec_b32 s0, vcc_lo
	s_cbranch_execz .LBB2_11
; %bb.10:                               ;   in Loop: Header=BB2_9 Depth=1
	ds_load_b32 v2, v20 offset:9220
	ds_load_b32 v24, v20
	v_add_nc_u32_e32 v26, 1, v26
	v_sub_nc_u32_e32 v18, v4, v3
	s_waitcnt lgkmcnt(1)
	v_mov_b32_e32 v3, v2
.LBB2_11:                               ;   in Loop: Header=BB2_9 Depth=1
	s_or_b32 exec_lo, exec_lo, s0
	s_waitcnt lgkmcnt(0)
	v_dual_mov_b32 v27, v24 :: v_dual_add_nc_u32 v2, 2, v4
	v_mov_b32_e32 v20, v18
	s_mov_b32 s0, exec_lo
	s_delay_alu instid0(VALU_DEP_2)
	v_cmpx_eq_u32_e64 v2, v3
	s_cbranch_execz .LBB2_13
; %bb.12:                               ;   in Loop: Header=BB2_9 Depth=1
	v_lshlrev_b32_e32 v2, 2, v26
	v_add_nc_u32_e32 v26, 1, v26
	v_sub_nc_u32_e32 v20, v4, v3
	ds_load_b32 v21, v2 offset:9220
	ds_load_b32 v27, v2
	s_waitcnt lgkmcnt(1)
	v_mov_b32_e32 v3, v21
.LBB2_13:                               ;   in Loop: Header=BB2_9 Depth=1
	s_or_b32 exec_lo, exec_lo, s0
	v_dual_mov_b32 v21, v20 :: v_dual_add_nc_u32 v2, 3, v4
	s_waitcnt lgkmcnt(0)
	v_mov_b32_e32 v29, v27
	s_mov_b32 s0, exec_lo
	s_delay_alu instid0(VALU_DEP_2)
	v_cmpx_eq_u32_e64 v2, v3
	s_cbranch_execz .LBB2_15
; %bb.14:                               ;   in Loop: Header=BB2_9 Depth=1
	v_lshlrev_b32_e32 v21, 2, v26
	v_add_nc_u32_e32 v26, 1, v26
	s_delay_alu instid0(VALU_DEP_2)
	v_add_nc_u32_e32 v2, 0x2400, v21
	ds_load_2addr_b32 v[2:3], v2 offset1:1
	ds_load_b32 v29, v21
	s_waitcnt lgkmcnt(1)
	v_sub_nc_u32_e32 v21, v4, v2
.LBB2_15:                               ;   in Loop: Header=BB2_9 Depth=1
	s_or_b32 exec_lo, exec_lo, s0
	v_add_nc_u32_e32 v2, 4, v4
	s_delay_alu instid0(VALU_DEP_2)
	v_mov_b32_e32 v22, v21
	s_waitcnt lgkmcnt(0)
	v_mov_b32_e32 v30, v29
	s_mov_b32 s0, exec_lo
	v_cmpx_eq_u32_e64 v2, v3
	s_cbranch_execz .LBB2_17
; %bb.16:                               ;   in Loop: Header=BB2_9 Depth=1
	v_lshlrev_b32_e32 v22, 2, v26
	v_add_nc_u32_e32 v26, 1, v26
	s_delay_alu instid0(VALU_DEP_2)
	v_add_nc_u32_e32 v2, 0x2400, v22
	ds_load_2addr_b32 v[2:3], v2 offset1:1
	ds_load_b32 v30, v22
	s_waitcnt lgkmcnt(1)
	v_sub_nc_u32_e32 v22, v4, v2
.LBB2_17:                               ;   in Loop: Header=BB2_9 Depth=1
	s_or_b32 exec_lo, exec_lo, s0
	s_delay_alu instid0(VALU_DEP_1) | instskip(SKIP_3) | instid1(VALU_DEP_2)
	v_dual_mov_b32 v25, v22 :: v_dual_add_nc_u32 v2, 5, v4
	s_waitcnt lgkmcnt(0)
	v_mov_b32_e32 v31, v30
	s_mov_b32 s0, exec_lo
	v_cmpx_eq_u32_e64 v2, v3
	s_cbranch_execz .LBB2_19
; %bb.18:                               ;   in Loop: Header=BB2_9 Depth=1
	v_lshlrev_b32_e32 v25, 2, v26
	v_add_nc_u32_e32 v26, 1, v26
	s_delay_alu instid0(VALU_DEP_2)
	v_add_nc_u32_e32 v2, 0x2400, v25
	ds_load_2addr_b32 v[2:3], v2 offset1:1
	ds_load_b32 v31, v25
	s_waitcnt lgkmcnt(1)
	v_sub_nc_u32_e32 v25, v4, v2
.LBB2_19:                               ;   in Loop: Header=BB2_9 Depth=1
	s_or_b32 exec_lo, exec_lo, s0
	v_add_nc_u32_e32 v2, 6, v4
	s_delay_alu instid0(VALU_DEP_2) | instskip(NEXT) | instid1(VALU_DEP_2)
	v_mov_b32_e32 v28, v25
	v_cmp_eq_u32_e32 vcc_lo, v2, v3
	s_waitcnt lgkmcnt(0)
	v_mov_b32_e32 v2, v31
	s_and_saveexec_b32 s0, vcc_lo
	s_cbranch_execz .LBB2_21
; %bb.20:                               ;   in Loop: Header=BB2_9 Depth=1
	v_lshlrev_b32_e32 v2, 2, v26
	ds_load_2addr_stride64_b32 v[2:3], v2 offset1:36
	s_waitcnt lgkmcnt(0)
	v_sub_nc_u32_e32 v28, v4, v3
.LBB2_21:                               ;   in Loop: Header=BB2_9 Depth=1
	s_or_b32 exec_lo, exec_lo, s0
	s_lshl_b64 s[6:7], s[8:9], 2
	s_min_u32 s5, s11, 0x700
	v_add_co_u32 v3, vcc_lo, v11, s6
	v_add_co_ci_u32_e32 v4, vcc_lo, s7, v12, vcc_lo
	v_cmp_gt_u32_e32 vcc_lo, s5, v1
	s_and_saveexec_b32 s0, vcc_lo
	s_cbranch_execnz .LBB2_36
; %bb.22:                               ;   in Loop: Header=BB2_9 Depth=1
	s_or_b32 exec_lo, exec_lo, s0
	v_cmp_gt_u32_e64 s0, s5, v6
	s_delay_alu instid0(VALU_DEP_1)
	s_and_saveexec_b32 s1, s0
	s_cbranch_execnz .LBB2_37
.LBB2_23:                               ;   in Loop: Header=BB2_9 Depth=1
	s_or_b32 exec_lo, exec_lo, s1
	v_cmp_gt_u32_e64 s1, s5, v7
	s_delay_alu instid0(VALU_DEP_1)
	s_and_saveexec_b32 s2, s1
	s_cbranch_execnz .LBB2_38
.LBB2_24:                               ;   in Loop: Header=BB2_9 Depth=1
	s_or_b32 exec_lo, exec_lo, s2
	v_cmp_gt_u32_e64 s2, s5, v8
	s_delay_alu instid0(VALU_DEP_1)
	s_and_saveexec_b32 s3, s2
	s_cbranch_execnz .LBB2_39
.LBB2_25:                               ;   in Loop: Header=BB2_9 Depth=1
	s_or_b32 exec_lo, exec_lo, s3
	v_cmp_gt_u32_e64 s3, s5, v9
	s_delay_alu instid0(VALU_DEP_1)
	s_and_saveexec_b32 s4, s3
	s_cbranch_execnz .LBB2_40
.LBB2_26:                               ;   in Loop: Header=BB2_9 Depth=1
	s_or_b32 exec_lo, exec_lo, s4
	v_cmp_gt_u32_e64 s4, s5, v10
	s_delay_alu instid0(VALU_DEP_1)
	s_and_saveexec_b32 s12, s4
	s_cbranch_execnz .LBB2_41
.LBB2_27:                               ;   in Loop: Header=BB2_9 Depth=1
	s_or_b32 exec_lo, exec_lo, s12
	v_cmp_gt_u32_e64 s5, s5, v13
	s_delay_alu instid0(VALU_DEP_1)
	s_and_saveexec_b32 s12, s5
	s_cbranch_execz .LBB2_29
.LBB2_28:                               ;   in Loop: Header=BB2_9 Depth=1
	global_store_b32 v[3:4], v2, off offset:24
.LBB2_29:                               ;   in Loop: Header=BB2_9 Depth=1
	s_or_b32 exec_lo, exec_lo, s12
	v_add_co_u32 v2, s6, v14, s6
	s_delay_alu instid0(VALU_DEP_1)
	v_add_co_ci_u32_e64 v3, s6, s7, v15, s6
	s_and_saveexec_b32 s6, vcc_lo
	s_cbranch_execnz .LBB2_42
; %bb.30:                               ;   in Loop: Header=BB2_9 Depth=1
	s_or_b32 exec_lo, exec_lo, s6
	s_and_saveexec_b32 s6, s0
	s_cbranch_execnz .LBB2_43
.LBB2_31:                               ;   in Loop: Header=BB2_9 Depth=1
	s_or_b32 exec_lo, exec_lo, s6
	s_and_saveexec_b32 s0, s1
	s_cbranch_execnz .LBB2_44
.LBB2_32:                               ;   in Loop: Header=BB2_9 Depth=1
	s_or_b32 exec_lo, exec_lo, s0
	s_and_saveexec_b32 s0, s2
	s_cbranch_execnz .LBB2_45
.LBB2_33:                               ;   in Loop: Header=BB2_9 Depth=1
	s_or_b32 exec_lo, exec_lo, s0
	s_and_saveexec_b32 s0, s3
	s_cbranch_execnz .LBB2_46
.LBB2_34:                               ;   in Loop: Header=BB2_9 Depth=1
	s_or_b32 exec_lo, exec_lo, s0
	s_and_saveexec_b32 s0, s4
	s_cbranch_execnz .LBB2_47
.LBB2_35:                               ;   in Loop: Header=BB2_9 Depth=1
	s_or_b32 exec_lo, exec_lo, s0
	s_and_saveexec_b32 s0, s5
	s_cbranch_execz .LBB2_8
	s_branch .LBB2_48
.LBB2_36:                               ;   in Loop: Header=BB2_9 Depth=1
	global_store_b32 v[3:4], v23, off
	s_or_b32 exec_lo, exec_lo, s0
	v_cmp_gt_u32_e64 s0, s5, v6
	s_delay_alu instid0(VALU_DEP_1)
	s_and_saveexec_b32 s1, s0
	s_cbranch_execz .LBB2_23
.LBB2_37:                               ;   in Loop: Header=BB2_9 Depth=1
	global_store_b32 v[3:4], v24, off offset:4
	s_or_b32 exec_lo, exec_lo, s1
	v_cmp_gt_u32_e64 s1, s5, v7
	s_delay_alu instid0(VALU_DEP_1)
	s_and_saveexec_b32 s2, s1
	s_cbranch_execz .LBB2_24
.LBB2_38:                               ;   in Loop: Header=BB2_9 Depth=1
	global_store_b32 v[3:4], v27, off offset:8
	s_or_b32 exec_lo, exec_lo, s2
	v_cmp_gt_u32_e64 s2, s5, v8
	s_delay_alu instid0(VALU_DEP_1)
	s_and_saveexec_b32 s3, s2
	s_cbranch_execz .LBB2_25
.LBB2_39:                               ;   in Loop: Header=BB2_9 Depth=1
	global_store_b32 v[3:4], v29, off offset:12
	s_or_b32 exec_lo, exec_lo, s3
	v_cmp_gt_u32_e64 s3, s5, v9
	s_delay_alu instid0(VALU_DEP_1)
	s_and_saveexec_b32 s4, s3
	s_cbranch_execz .LBB2_26
.LBB2_40:                               ;   in Loop: Header=BB2_9 Depth=1
	global_store_b32 v[3:4], v30, off offset:16
	s_or_b32 exec_lo, exec_lo, s4
	v_cmp_gt_u32_e64 s4, s5, v10
	s_delay_alu instid0(VALU_DEP_1)
	s_and_saveexec_b32 s12, s4
	s_cbranch_execz .LBB2_27
.LBB2_41:                               ;   in Loop: Header=BB2_9 Depth=1
	global_store_b32 v[3:4], v31, off offset:20
	s_or_b32 exec_lo, exec_lo, s12
	v_cmp_gt_u32_e64 s5, s5, v13
	s_delay_alu instid0(VALU_DEP_1)
	s_and_saveexec_b32 s12, s5
	s_cbranch_execnz .LBB2_28
	s_branch .LBB2_29
.LBB2_42:                               ;   in Loop: Header=BB2_9 Depth=1
	global_store_b32 v[2:3], v19, off
	s_or_b32 exec_lo, exec_lo, s6
	s_and_saveexec_b32 s6, s0
	s_cbranch_execz .LBB2_31
.LBB2_43:                               ;   in Loop: Header=BB2_9 Depth=1
	v_add_nc_u32_e32 v4, 1, v18
	global_store_b32 v[2:3], v4, off offset:4
	s_or_b32 exec_lo, exec_lo, s6
	s_and_saveexec_b32 s0, s1
	s_cbranch_execz .LBB2_32
.LBB2_44:                               ;   in Loop: Header=BB2_9 Depth=1
	v_add_nc_u32_e32 v4, 2, v20
	global_store_b32 v[2:3], v4, off offset:8
	s_or_b32 exec_lo, exec_lo, s0
	s_and_saveexec_b32 s0, s2
	s_cbranch_execz .LBB2_33
.LBB2_45:                               ;   in Loop: Header=BB2_9 Depth=1
	v_add_nc_u32_e32 v4, 3, v21
	global_store_b32 v[2:3], v4, off offset:12
	s_or_b32 exec_lo, exec_lo, s0
	s_and_saveexec_b32 s0, s3
	s_cbranch_execz .LBB2_34
.LBB2_46:                               ;   in Loop: Header=BB2_9 Depth=1
	v_add_nc_u32_e32 v4, 4, v22
	global_store_b32 v[2:3], v4, off offset:16
	s_or_b32 exec_lo, exec_lo, s0
	s_and_saveexec_b32 s0, s4
	s_cbranch_execz .LBB2_35
.LBB2_47:                               ;   in Loop: Header=BB2_9 Depth=1
	v_add_nc_u32_e32 v4, 5, v25
	global_store_b32 v[2:3], v4, off offset:20
	s_or_b32 exec_lo, exec_lo, s0
	s_and_saveexec_b32 s0, s5
	s_cbranch_execz .LBB2_8
.LBB2_48:                               ;   in Loop: Header=BB2_9 Depth=1
	v_add_nc_u32_e32 v4, 6, v28
	global_store_b32 v[2:3], v4, off offset:24
	s_branch .LBB2_8
.LBB2_49:
	s_nop 0
	s_sendmsg sendmsg(MSG_DEALLOC_VGPRS)
	s_endpgm
	.section	.rodata,"a",@progbits
	.p2align	6, 0x0
	.amdhsa_kernel _Z30block_run_length_decode_kernelIfiLj256ELj9ELj7EEvPKT_PKT0_PS0_PS3_
		.amdhsa_group_segment_fixed_size 18432
		.amdhsa_private_segment_fixed_size 0
		.amdhsa_kernarg_size 32
		.amdhsa_user_sgpr_count 15
		.amdhsa_user_sgpr_dispatch_ptr 0
		.amdhsa_user_sgpr_queue_ptr 0
		.amdhsa_user_sgpr_kernarg_segment_ptr 1
		.amdhsa_user_sgpr_dispatch_id 0
		.amdhsa_user_sgpr_private_segment_size 0
		.amdhsa_wavefront_size32 1
		.amdhsa_uses_dynamic_stack 0
		.amdhsa_enable_private_segment 0
		.amdhsa_system_sgpr_workgroup_id_x 1
		.amdhsa_system_sgpr_workgroup_id_y 0
		.amdhsa_system_sgpr_workgroup_id_z 0
		.amdhsa_system_sgpr_workgroup_info 0
		.amdhsa_system_vgpr_workitem_id 0
		.amdhsa_next_free_vgpr 32
		.amdhsa_next_free_sgpr 16
		.amdhsa_reserve_vcc 1
		.amdhsa_float_round_mode_32 0
		.amdhsa_float_round_mode_16_64 0
		.amdhsa_float_denorm_mode_32 3
		.amdhsa_float_denorm_mode_16_64 3
		.amdhsa_dx10_clamp 1
		.amdhsa_ieee_mode 1
		.amdhsa_fp16_overflow 0
		.amdhsa_workgroup_processor_mode 1
		.amdhsa_memory_ordered 1
		.amdhsa_forward_progress 0
		.amdhsa_shared_vgpr_count 0
		.amdhsa_exception_fp_ieee_invalid_op 0
		.amdhsa_exception_fp_denorm_src 0
		.amdhsa_exception_fp_ieee_div_zero 0
		.amdhsa_exception_fp_ieee_overflow 0
		.amdhsa_exception_fp_ieee_underflow 0
		.amdhsa_exception_fp_ieee_inexact 0
		.amdhsa_exception_int_div_zero 0
	.end_amdhsa_kernel
	.section	.text._Z30block_run_length_decode_kernelIfiLj256ELj9ELj7EEvPKT_PKT0_PS0_PS3_,"axG",@progbits,_Z30block_run_length_decode_kernelIfiLj256ELj9ELj7EEvPKT_PKT0_PS0_PS3_,comdat
.Lfunc_end2:
	.size	_Z30block_run_length_decode_kernelIfiLj256ELj9ELj7EEvPKT_PKT0_PS0_PS3_, .Lfunc_end2-_Z30block_run_length_decode_kernelIfiLj256ELj9ELj7EEvPKT_PKT0_PS0_PS3_
                                        ; -- End function
	.section	.AMDGPU.csdata,"",@progbits
; Kernel info:
; codeLenInByte = 3188
; NumSgprs: 18
; NumVgprs: 32
; ScratchSize: 0
; MemoryBound: 0
; FloatMode: 240
; IeeeMode: 1
; LDSByteSize: 18432 bytes/workgroup (compile time only)
; SGPRBlocks: 2
; VGPRBlocks: 3
; NumSGPRsForWavesPerEU: 18
; NumVGPRsForWavesPerEU: 32
; Occupancy: 14
; WaveLimiterHint : 0
; COMPUTE_PGM_RSRC2:SCRATCH_EN: 0
; COMPUTE_PGM_RSRC2:USER_SGPR: 15
; COMPUTE_PGM_RSRC2:TRAP_HANDLER: 0
; COMPUTE_PGM_RSRC2:TGID_X_EN: 1
; COMPUTE_PGM_RSRC2:TGID_Y_EN: 0
; COMPUTE_PGM_RSRC2:TGID_Z_EN: 0
; COMPUTE_PGM_RSRC2:TIDIG_COMP_CNT: 0
	.section	.text._Z30block_run_length_decode_kernelIcxLj256ELj9ELj7EEvPKT_PKT0_PS0_PS3_,"axG",@progbits,_Z30block_run_length_decode_kernelIcxLj256ELj9ELj7EEvPKT_PKT0_PS0_PS3_,comdat
	.protected	_Z30block_run_length_decode_kernelIcxLj256ELj9ELj7EEvPKT_PKT0_PS0_PS3_ ; -- Begin function _Z30block_run_length_decode_kernelIcxLj256ELj9ELj7EEvPKT_PKT0_PS0_PS3_
	.globl	_Z30block_run_length_decode_kernelIcxLj256ELj9ELj7EEvPKT_PKT0_PS0_PS3_
	.p2align	8
	.type	_Z30block_run_length_decode_kernelIcxLj256ELj9ELj7EEvPKT_PKT0_PS0_PS3_,@function
_Z30block_run_length_decode_kernelIcxLj256ELj9ELj7EEvPKT_PKT0_PS0_PS3_: ; @_Z30block_run_length_decode_kernelIcxLj256ELj9ELj7EEvPKT_PKT0_PS0_PS3_
; %bb.0:
	s_load_b256 s[0:7], s[0:1], 0x0
	v_lshl_or_b32 v17, s15, 8, v0
	v_mov_b32_e32 v19, 0
	s_delay_alu instid0(VALU_DEP_2) | instskip(NEXT) | instid1(VALU_DEP_1)
	v_lshl_add_u32 v18, v17, 3, v17
	v_lshlrev_b64 v[1:2], 3, v[18:19]
	s_waitcnt lgkmcnt(0)
	s_delay_alu instid0(VALU_DEP_1) | instskip(NEXT) | instid1(VALU_DEP_2)
	v_add_co_u32 v19, vcc_lo, s2, v1
	v_add_co_ci_u32_e32 v20, vcc_lo, s3, v2, vcc_lo
	s_clause 0x4
	global_load_b128 v[9:12], v[19:20], off offset:16
	global_load_b128 v[12:15], v[19:20], off
	global_load_b128 v[5:8], v[19:20], off offset:32
	global_load_b128 v[1:4], v[19:20], off offset:48
	global_load_b32 v6, v[19:20], off offset:64
	s_clause 0x1
	global_load_u8 v2, v18, s[0:1] offset:8
	global_load_b64 v[15:16], v18, s[0:1]
	s_waitcnt vmcnt(5)
	v_or_b32_e32 v13, 31, v0
	s_mov_b32 s0, exec_lo
	s_waitcnt vmcnt(3)
	v_add3_u32 v4, v14, v12, v9
	s_delay_alu instid0(VALU_DEP_1) | instskip(NEXT) | instid1(VALU_DEP_1)
	v_add3_u32 v4, v4, v11, v5
	v_add3_u32 v8, v4, v7, v1
	v_mbcnt_lo_u32_b32 v4, -1, 0
	s_waitcnt vmcnt(2)
	s_delay_alu instid0(VALU_DEP_2) | instskip(NEXT) | instid1(VALU_DEP_2)
	v_add3_u32 v6, v8, v3, v6
	v_and_b32_e32 v8, 15, v4
	s_delay_alu instid0(VALU_DEP_2) | instskip(NEXT) | instid1(VALU_DEP_2)
	v_mov_b32_dpp v10, v6 row_shr:1 row_mask:0xf bank_mask:0xf
	v_cmp_ne_u32_e32 vcc_lo, 0, v8
	s_delay_alu instid0(VALU_DEP_2) | instskip(SKIP_1) | instid1(VALU_DEP_2)
	v_cndmask_b32_e32 v10, 0, v10, vcc_lo
	v_cmp_lt_u32_e32 vcc_lo, 1, v8
	v_add_nc_u32_e32 v6, v10, v6
	s_delay_alu instid0(VALU_DEP_1) | instskip(NEXT) | instid1(VALU_DEP_1)
	v_mov_b32_dpp v10, v6 row_shr:2 row_mask:0xf bank_mask:0xf
	v_cndmask_b32_e32 v10, 0, v10, vcc_lo
	v_cmp_lt_u32_e32 vcc_lo, 3, v8
	s_delay_alu instid0(VALU_DEP_2) | instskip(NEXT) | instid1(VALU_DEP_1)
	v_add_nc_u32_e32 v6, v6, v10
	v_mov_b32_dpp v10, v6 row_shr:4 row_mask:0xf bank_mask:0xf
	s_delay_alu instid0(VALU_DEP_1) | instskip(SKIP_1) | instid1(VALU_DEP_2)
	v_cndmask_b32_e32 v10, 0, v10, vcc_lo
	v_cmp_lt_u32_e32 vcc_lo, 7, v8
	v_add_nc_u32_e32 v6, v6, v10
	s_delay_alu instid0(VALU_DEP_1) | instskip(NEXT) | instid1(VALU_DEP_1)
	v_mov_b32_dpp v10, v6 row_shr:8 row_mask:0xf bank_mask:0xf
	v_cndmask_b32_e32 v8, 0, v10, vcc_lo
	v_bfe_i32 v10, v4, 4, 1
	s_delay_alu instid0(VALU_DEP_2) | instskip(SKIP_4) | instid1(VALU_DEP_2)
	v_add_nc_u32_e32 v6, v6, v8
	ds_swizzle_b32 v8, v6 offset:swizzle(BROADCAST,32,15)
	s_waitcnt lgkmcnt(0)
	v_and_b32_e32 v10, v10, v8
	v_lshrrev_b32_e32 v8, 5, v0
	v_add_nc_u32_e32 v6, v6, v10
	v_cmpx_eq_u32_e64 v13, v0
	s_cbranch_execz .LBB3_2
; %bb.1:
	s_delay_alu instid0(VALU_DEP_3)
	v_lshlrev_b32_e32 v10, 2, v8
	ds_store_b32 v10, v6
.LBB3_2:
	s_or_b32 exec_lo, exec_lo, s0
	s_delay_alu instid0(SALU_CYCLE_1)
	s_mov_b32 s0, exec_lo
	s_waitcnt vmcnt(0) lgkmcnt(0)
	s_barrier
	buffer_gl0_inv
	v_cmpx_gt_u32_e32 8, v0
	s_cbranch_execz .LBB3_4
; %bb.3:
	v_and_b32_e32 v18, 7, v4
	s_delay_alu instid0(VALU_DEP_1) | instskip(SKIP_4) | instid1(VALU_DEP_1)
	v_cmp_ne_u32_e32 vcc_lo, 0, v18
	v_lshlrev_b32_e32 v10, 2, v0
	ds_load_b32 v13, v10
	s_waitcnt lgkmcnt(0)
	v_mov_b32_dpp v19, v13 row_shr:1 row_mask:0xf bank_mask:0xf
	v_cndmask_b32_e32 v19, 0, v19, vcc_lo
	v_cmp_lt_u32_e32 vcc_lo, 1, v18
	s_delay_alu instid0(VALU_DEP_2) | instskip(NEXT) | instid1(VALU_DEP_1)
	v_add_nc_u32_e32 v13, v19, v13
	v_mov_b32_dpp v19, v13 row_shr:2 row_mask:0xf bank_mask:0xf
	s_delay_alu instid0(VALU_DEP_1) | instskip(SKIP_1) | instid1(VALU_DEP_2)
	v_cndmask_b32_e32 v19, 0, v19, vcc_lo
	v_cmp_lt_u32_e32 vcc_lo, 3, v18
	v_add_nc_u32_e32 v13, v13, v19
	s_delay_alu instid0(VALU_DEP_1) | instskip(NEXT) | instid1(VALU_DEP_1)
	v_mov_b32_dpp v19, v13 row_shr:4 row_mask:0xf bank_mask:0xf
	v_cndmask_b32_e32 v18, 0, v19, vcc_lo
	s_delay_alu instid0(VALU_DEP_1)
	v_add_nc_u32_e32 v13, v13, v18
	ds_store_b32 v10, v13
.LBB3_4:
	s_or_b32 exec_lo, exec_lo, s0
	v_dual_mov_b32 v10, 0 :: v_dual_mov_b32 v13, 0
	s_mov_b32 s0, exec_lo
	s_waitcnt lgkmcnt(0)
	s_barrier
	buffer_gl0_inv
	v_cmpx_lt_u32_e32 31, v0
	s_cbranch_execz .LBB3_6
; %bb.5:
	v_lshl_add_u32 v8, v8, 2, -4
	ds_load_b32 v13, v8
.LBB3_6:
	s_or_b32 exec_lo, exec_lo, s0
	v_add_nc_u32_e32 v8, -1, v4
	s_waitcnt lgkmcnt(0)
	v_add_nc_u32_e32 v6, v13, v6
	ds_load_b32 v10, v10 offset:28
	s_mov_b32 s9, 0
	s_waitcnt lgkmcnt(0)
	v_cmp_gt_i32_e32 vcc_lo, 0, v8
	s_barrier
	buffer_gl0_inv
	v_cndmask_b32_e32 v8, v8, v4, vcc_lo
	v_cmp_eq_u32_e32 vcc_lo, 0, v4
	s_delay_alu instid0(VALU_DEP_2)
	v_lshlrev_b32_e32 v8, 2, v8
	ds_bpermute_b32 v6, v8, v6
	v_readfirstlane_b32 s10, v10
	s_waitcnt lgkmcnt(0)
	v_cndmask_b32_e32 v4, v6, v13, vcc_lo
	v_cmp_ne_u32_e32 vcc_lo, 0, v0
	s_delay_alu instid0(VALU_DEP_2) | instskip(SKIP_1) | instid1(VALU_DEP_2)
	v_cndmask_b32_e32 v4, 0, v4, vcc_lo
	v_cmp_eq_u32_e32 vcc_lo, 0, v10
	v_add_nc_u32_e32 v6, v4, v12
	v_mul_u32_u24_e32 v12, 9, v0
	s_and_b32 vcc_lo, exec_lo, vcc_lo
	s_delay_alu instid0(VALU_DEP_2) | instskip(NEXT) | instid1(VALU_DEP_2)
	v_add_nc_u32_e32 v8, v6, v14
	v_lshlrev_b32_e32 v13, 2, v12
	s_delay_alu instid0(VALU_DEP_2) | instskip(NEXT) | instid1(VALU_DEP_2)
	v_add_nc_u32_e32 v9, v8, v9
	v_add_nc_u32_e32 v14, 0x900, v13
	;; [unrolled: 1-line block ×4, first 2 shown]
	ds_store_2addr_b32 v14, v4, v6 offset1:1
	ds_store_b32 v13, v8 offset:2312
	ds_store_b32 v12, v15
	v_add_nc_u32_e32 v11, v9, v11
	s_delay_alu instid0(VALU_DEP_1) | instskip(NEXT) | instid1(VALU_DEP_1)
	v_add_nc_u32_e32 v5, v11, v5
	v_add_nc_u32_e32 v7, v5, v7
	s_delay_alu instid0(VALU_DEP_1) | instskip(NEXT) | instid1(VALU_DEP_1)
	v_add_nc_u32_e32 v1, v7, v1
	v_add_nc_u32_e32 v3, v1, v3
	ds_store_2addr_b32 v18, v9, v11 offset1:1
	ds_store_2addr_b32 v19, v5, v7 offset1:1
	ds_store_b32 v12, v16 offset:4
	ds_store_b32 v13, v1 offset:2332
	ds_store_b8 v12, v2 offset:8
	ds_store_b32 v13, v3 offset:2336
	s_waitcnt lgkmcnt(0)
	s_barrier
	buffer_gl0_inv
	s_cbranch_vccnz .LBB3_49
; %bb.7:
	v_mul_lo_u32 v2, v17, 7
	v_mov_b32_e32 v1, 0
	v_mul_u32_u24_e32 v5, 7, v0
	s_mov_b32 s8, s9
	v_mov_b32_e32 v17, 0x480
	v_mov_b32_e32 v18, 0x240
	v_add_nc_u32_e32 v10, 2, v2
	ds_load_b32 v6, v1 offset:6912
	v_dual_mov_b32 v3, v1 :: v_dual_add_nc_u32 v12, 4, v2
	v_add_co_u32 v7, s0, s4, v2
	s_delay_alu instid0(VALU_DEP_1) | instskip(NEXT) | instid1(VALU_DEP_3)
	v_add_co_ci_u32_e64 v8, null, s5, 0, s0
	v_lshlrev_b64 v[3:4], 3, v[2:3]
	v_add_nc_u32_e32 v9, 1, v2
	v_add_nc_u32_e32 v11, 3, v2
	;; [unrolled: 1-line block ×4, first 2 shown]
	v_add_co_u32 v15, vcc_lo, s6, v3
	v_add_co_ci_u32_e32 v16, vcc_lo, s7, v4, vcc_lo
	s_mov_b32 s7, s10
	s_branch .LBB3_9
.LBB3_8:                                ;   in Loop: Header=BB3_9 Depth=1
	s_or_b32 exec_lo, exec_lo, s0
	s_addk_i32 s8, 0x700
	s_addk_i32 s7, 0xf900
	s_cmp_lt_u32 s8, s10
	s_cbranch_scc0 .LBB3_49
.LBB3_9:                                ; =>This Inner Loop Header: Depth=1
	v_add_nc_u32_e32 v19, s8, v5
	s_waitcnt lgkmcnt(0)
	s_delay_alu instid0(VALU_DEP_1) | instskip(SKIP_3) | instid1(VALU_DEP_3)
	v_cmp_gt_u32_e32 vcc_lo, v6, v19
	v_cndmask_b32_e32 v3, 0x6c0, v18, vcc_lo
	v_cndmask_b32_e64 v0, 0x481, 0, vcc_lo
	v_cndmask_b32_e32 v20, 0x900, v17, vcc_lo
	v_lshlrev_b32_e32 v4, 2, v3
	v_or_b32_e32 v21, 1, v3
	ds_load_b32 v4, v4 offset:2304
	s_waitcnt lgkmcnt(0)
	v_cmp_gt_u32_e32 vcc_lo, v4, v19
	v_dual_cndmask_b32 v0, v21, v0 :: v_dual_cndmask_b32 v3, v20, v3
	s_delay_alu instid0(VALU_DEP_1) | instskip(NEXT) | instid1(VALU_DEP_1)
	v_sub_nc_u32_e32 v4, v3, v0
	v_lshrrev_b16 v20, 15, v4
	s_delay_alu instid0(VALU_DEP_1) | instskip(NEXT) | instid1(VALU_DEP_1)
	v_add_nc_u16 v4, v4, v20
	v_ashrrev_i16 v4, 1, v4
	s_delay_alu instid0(VALU_DEP_1) | instskip(NEXT) | instid1(VALU_DEP_1)
	v_bfe_i32 v4, v4, 0, 16
	v_add_nc_u32_e32 v4, v0, v4
	s_delay_alu instid0(VALU_DEP_1) | instskip(NEXT) | instid1(VALU_DEP_1)
	v_min_i32_e32 v4, 0x8ff, v4
	v_lshlrev_b32_e32 v20, 2, v4
	v_add_nc_u32_e32 v21, 1, v4
	ds_load_b32 v20, v20 offset:2304
	s_waitcnt lgkmcnt(0)
	v_cmp_gt_u32_e32 vcc_lo, v20, v19
	v_cndmask_b32_e32 v0, v21, v0, vcc_lo
	v_cndmask_b32_e32 v3, v3, v4, vcc_lo
	s_delay_alu instid0(VALU_DEP_1) | instskip(NEXT) | instid1(VALU_DEP_1)
	v_sub_nc_u32_e32 v4, v3, v0
	v_lshrrev_b16 v20, 15, v4
	s_delay_alu instid0(VALU_DEP_1) | instskip(NEXT) | instid1(VALU_DEP_1)
	v_add_nc_u16 v4, v4, v20
	v_ashrrev_i16 v4, 1, v4
	s_delay_alu instid0(VALU_DEP_1) | instskip(NEXT) | instid1(VALU_DEP_1)
	v_bfe_i32 v4, v4, 0, 16
	v_add_nc_u32_e32 v4, v0, v4
	s_delay_alu instid0(VALU_DEP_1) | instskip(NEXT) | instid1(VALU_DEP_1)
	v_min_i32_e32 v4, 0x8ff, v4
	v_lshlrev_b32_e32 v20, 2, v4
	v_add_nc_u32_e32 v21, 1, v4
	ds_load_b32 v20, v20 offset:2304
	s_waitcnt lgkmcnt(0)
	v_cmp_gt_u32_e32 vcc_lo, v20, v19
	v_cndmask_b32_e32 v0, v21, v0, vcc_lo
	v_cndmask_b32_e32 v3, v3, v4, vcc_lo
	;; [unrolled: 18-line block ×7, first 2 shown]
	s_delay_alu instid0(VALU_DEP_1) | instskip(NEXT) | instid1(VALU_DEP_1)
	v_sub_nc_u32_e32 v4, v3, v0
	v_lshrrev_b32_e32 v20, 31, v4
	s_delay_alu instid0(VALU_DEP_1) | instskip(NEXT) | instid1(VALU_DEP_1)
	v_add_nc_u32_e32 v4, v4, v20
	v_ashrrev_i32_e32 v4, 1, v4
	s_delay_alu instid0(VALU_DEP_1) | instskip(NEXT) | instid1(VALU_DEP_1)
	v_add_nc_u32_e32 v4, v4, v0
	v_min_i32_e32 v4, 0x8ff, v4
	s_delay_alu instid0(VALU_DEP_1)
	v_lshlrev_b32_e32 v20, 2, v4
	v_add_nc_u32_e32 v21, 1, v4
	ds_load_b32 v20, v20 offset:2304
	s_waitcnt lgkmcnt(0)
	v_cmp_gt_u32_e32 vcc_lo, v20, v19
	v_cndmask_b32_e32 v0, v21, v0, vcc_lo
	v_cndmask_b32_e32 v3, v3, v4, vcc_lo
	s_delay_alu instid0(VALU_DEP_1) | instskip(NEXT) | instid1(VALU_DEP_1)
	v_sub_nc_u32_e32 v4, v3, v0
	v_lshrrev_b32_e32 v20, 31, v4
	s_delay_alu instid0(VALU_DEP_1) | instskip(NEXT) | instid1(VALU_DEP_1)
	v_add_nc_u32_e32 v4, v4, v20
	v_ashrrev_i32_e32 v4, 1, v4
	s_delay_alu instid0(VALU_DEP_1) | instskip(NEXT) | instid1(VALU_DEP_1)
	v_add_nc_u32_e32 v4, v4, v0
	v_min_i32_e32 v4, 0x8ff, v4
	s_delay_alu instid0(VALU_DEP_1)
	v_lshlrev_b32_e32 v20, 2, v4
	v_add_nc_u32_e32 v21, 1, v4
	ds_load_b32 v20, v20 offset:2304
	s_waitcnt lgkmcnt(0)
	v_cmp_gt_u32_e32 vcc_lo, v20, v19
	v_cndmask_b32_e32 v0, v21, v0, vcc_lo
	v_cndmask_b32_e32 v3, v3, v4, vcc_lo
	s_delay_alu instid0(VALU_DEP_1) | instskip(NEXT) | instid1(VALU_DEP_1)
	v_sub_nc_u32_e32 v4, v3, v0
	v_lshrrev_b32_e32 v20, 31, v4
	s_delay_alu instid0(VALU_DEP_1) | instskip(NEXT) | instid1(VALU_DEP_1)
	v_add_nc_u32_e32 v4, v4, v20
	v_ashrrev_i32_e32 v4, 1, v4
	s_delay_alu instid0(VALU_DEP_1) | instskip(NEXT) | instid1(VALU_DEP_1)
	v_add_nc_u32_e32 v4, v4, v0
	v_min_i32_e32 v4, 0x8ff, v4
	s_delay_alu instid0(VALU_DEP_1)
	v_lshlrev_b32_e32 v20, 2, v4
	v_add_nc_u32_e32 v21, 1, v4
	ds_load_b32 v20, v20 offset:2304
	s_waitcnt lgkmcnt(0)
	v_cmp_gt_u32_e32 vcc_lo, v20, v19
	v_add_nc_u32_e32 v20, 1, v19
	v_cndmask_b32_e32 v0, v21, v0, vcc_lo
	v_cndmask_b32_e32 v3, v3, v4, vcc_lo
	s_delay_alu instid0(VALU_DEP_1) | instskip(NEXT) | instid1(VALU_DEP_1)
	v_sub_nc_u32_e32 v3, v3, v0
	v_lshrrev_b32_e32 v4, 31, v3
	s_delay_alu instid0(VALU_DEP_1) | instskip(NEXT) | instid1(VALU_DEP_1)
	v_add_nc_u32_e32 v3, v3, v4
	v_ashrrev_i32_e32 v3, 1, v3
	s_delay_alu instid0(VALU_DEP_1) | instskip(NEXT) | instid1(VALU_DEP_1)
	v_add_nc_u32_e32 v3, v3, v0
	v_min_i32_e32 v3, 0x8ff, v3
	s_delay_alu instid0(VALU_DEP_1)
	v_lshlrev_b32_e32 v4, 2, v3
	v_add_nc_u32_e32 v3, 1, v3
	ds_load_b32 v4, v4 offset:2304
	s_waitcnt lgkmcnt(0)
	v_cmp_gt_u32_e32 vcc_lo, v4, v19
	v_cndmask_b32_e32 v29, v3, v0, vcc_lo
	s_delay_alu instid0(VALU_DEP_1) | instskip(NEXT) | instid1(VALU_DEP_1)
	v_lshlrev_b32_e32 v21, 2, v29
	v_add_nc_u32_e32 v0, 0x8fc, v21
	ds_load_2addr_b32 v[3:4], v0 offset1:1
	v_add_nc_u32_e32 v0, -1, v29
	ds_load_u8 v25, v0
	s_waitcnt lgkmcnt(1)
	v_sub_nc_u32_e32 v0, v19, v3
	v_cmp_eq_u32_e32 vcc_lo, v20, v4
	s_delay_alu instid0(VALU_DEP_2)
	v_mov_b32_e32 v20, v0
	s_waitcnt lgkmcnt(0)
	v_mov_b32_e32 v26, v25
	s_and_saveexec_b32 s0, vcc_lo
	s_cbranch_execz .LBB3_11
; %bb.10:                               ;   in Loop: Header=BB3_9 Depth=1
	ds_load_b32 v3, v21 offset:2308
	ds_load_u8 v26, v29
	v_add_nc_u32_e32 v29, 1, v29
	v_sub_nc_u32_e32 v20, v19, v4
	s_waitcnt lgkmcnt(1)
	v_mov_b32_e32 v4, v3
.LBB3_11:                               ;   in Loop: Header=BB3_9 Depth=1
	s_or_b32 exec_lo, exec_lo, s0
	s_waitcnt lgkmcnt(0)
	v_dual_mov_b32 v28, v26 :: v_dual_add_nc_u32 v3, 2, v19
	v_mov_b32_e32 v21, v20
	s_mov_b32 s0, exec_lo
	s_delay_alu instid0(VALU_DEP_2)
	v_cmpx_eq_u32_e64 v3, v4
	s_cbranch_execz .LBB3_13
; %bb.12:                               ;   in Loop: Header=BB3_9 Depth=1
	v_add_nc_u32_e32 v3, 1, v29
	s_delay_alu instid0(VALU_DEP_1)
	v_lshlrev_b32_e32 v21, 2, v3
	ds_load_b32 v22, v21 offset:2304
	ds_load_u8 v28, v29
	v_sub_nc_u32_e32 v21, v19, v4
	s_waitcnt lgkmcnt(1)
	v_dual_mov_b32 v4, v22 :: v_dual_mov_b32 v29, v3
.LBB3_13:                               ;   in Loop: Header=BB3_9 Depth=1
	s_or_b32 exec_lo, exec_lo, s0
	s_delay_alu instid0(VALU_DEP_2) | instskip(SKIP_3) | instid1(VALU_DEP_2)
	v_dual_mov_b32 v22, v21 :: v_dual_add_nc_u32 v3, 3, v19
	s_waitcnt lgkmcnt(0)
	v_mov_b32_e32 v30, v28
	s_mov_b32 s0, exec_lo
	v_cmpx_eq_u32_e64 v3, v4
	s_cbranch_execz .LBB3_15
; %bb.14:                               ;   in Loop: Header=BB3_9 Depth=1
	v_lshl_add_u32 v3, v29, 2, 0x900
	ds_load_2addr_b32 v[3:4], v3 offset1:1
	ds_load_u8 v30, v29
	v_add_nc_u32_e32 v29, 1, v29
	s_waitcnt lgkmcnt(1)
	v_sub_nc_u32_e32 v22, v19, v3
.LBB3_15:                               ;   in Loop: Header=BB3_9 Depth=1
	s_or_b32 exec_lo, exec_lo, s0
	v_add_nc_u32_e32 v3, 4, v19
	s_delay_alu instid0(VALU_DEP_2)
	v_mov_b32_e32 v23, v22
	s_waitcnt lgkmcnt(0)
	v_mov_b32_e32 v31, v30
	s_mov_b32 s0, exec_lo
	v_cmpx_eq_u32_e64 v3, v4
	s_cbranch_execz .LBB3_17
; %bb.16:                               ;   in Loop: Header=BB3_9 Depth=1
	v_lshl_add_u32 v3, v29, 2, 0x900
	ds_load_2addr_b32 v[3:4], v3 offset1:1
	ds_load_u8 v31, v29
	v_add_nc_u32_e32 v29, 1, v29
	s_waitcnt lgkmcnt(1)
	v_sub_nc_u32_e32 v23, v19, v3
.LBB3_17:                               ;   in Loop: Header=BB3_9 Depth=1
	s_or_b32 exec_lo, exec_lo, s0
	s_delay_alu instid0(VALU_DEP_1) | instskip(SKIP_3) | instid1(VALU_DEP_2)
	v_dual_mov_b32 v24, v23 :: v_dual_add_nc_u32 v3, 5, v19
	s_waitcnt lgkmcnt(0)
	v_mov_b32_e32 v32, v31
	s_mov_b32 s0, exec_lo
	v_cmpx_eq_u32_e64 v3, v4
	s_cbranch_execz .LBB3_19
; %bb.18:                               ;   in Loop: Header=BB3_9 Depth=1
	v_lshl_add_u32 v3, v29, 2, 0x900
	ds_load_2addr_b32 v[3:4], v3 offset1:1
	ds_load_u8 v32, v29
	v_add_nc_u32_e32 v29, 1, v29
	s_waitcnt lgkmcnt(1)
	v_sub_nc_u32_e32 v24, v19, v3
.LBB3_19:                               ;   in Loop: Header=BB3_9 Depth=1
	s_or_b32 exec_lo, exec_lo, s0
	v_add_nc_u32_e32 v3, 6, v19
	s_delay_alu instid0(VALU_DEP_2)
	v_mov_b32_e32 v27, v24
	s_waitcnt lgkmcnt(0)
	v_mov_b32_e32 v33, v32
	s_mov_b32 s0, exec_lo
	v_cmpx_eq_u32_e64 v3, v4
	s_cbranch_execz .LBB3_21
; %bb.20:                               ;   in Loop: Header=BB3_9 Depth=1
	v_lshlrev_b32_e32 v3, 2, v29
	ds_load_b32 v3, v3 offset:2304
	ds_load_u8 v33, v29
	s_waitcnt lgkmcnt(1)
	v_sub_nc_u32_e32 v27, v19, v3
.LBB3_21:                               ;   in Loop: Header=BB3_9 Depth=1
	s_or_b32 exec_lo, exec_lo, s0
	s_min_u32 s6, s7, 0x700
	v_add_co_u32 v3, vcc_lo, v7, s8
	v_add_co_ci_u32_e32 v4, vcc_lo, 0, v8, vcc_lo
	v_cmp_gt_u32_e64 s5, s6, v2
	s_delay_alu instid0(VALU_DEP_1)
	s_and_saveexec_b32 s0, s5
	s_cbranch_execnz .LBB3_36
; %bb.22:                               ;   in Loop: Header=BB3_9 Depth=1
	s_or_b32 exec_lo, exec_lo, s0
	v_cmp_gt_u32_e64 s4, s6, v9
	s_delay_alu instid0(VALU_DEP_1)
	s_and_saveexec_b32 s0, s4
	s_cbranch_execnz .LBB3_37
.LBB3_23:                               ;   in Loop: Header=BB3_9 Depth=1
	s_or_b32 exec_lo, exec_lo, s0
	v_cmp_gt_u32_e64 s3, s6, v10
	s_delay_alu instid0(VALU_DEP_1)
	s_and_saveexec_b32 s0, s3
	s_cbranch_execnz .LBB3_38
.LBB3_24:                               ;   in Loop: Header=BB3_9 Depth=1
	s_or_b32 exec_lo, exec_lo, s0
	v_cmp_gt_u32_e64 s2, s6, v11
	s_delay_alu instid0(VALU_DEP_1)
	s_and_saveexec_b32 s0, s2
	s_cbranch_execnz .LBB3_39
.LBB3_25:                               ;   in Loop: Header=BB3_9 Depth=1
	s_or_b32 exec_lo, exec_lo, s0
	v_cmp_gt_u32_e64 s1, s6, v12
	s_delay_alu instid0(VALU_DEP_1)
	s_and_saveexec_b32 s0, s1
	s_cbranch_execnz .LBB3_40
.LBB3_26:                               ;   in Loop: Header=BB3_9 Depth=1
	s_or_b32 exec_lo, exec_lo, s0
	v_cmp_gt_u32_e64 s0, s6, v13
	s_delay_alu instid0(VALU_DEP_1)
	s_and_saveexec_b32 s11, s0
	s_cbranch_execnz .LBB3_41
.LBB3_27:                               ;   in Loop: Header=BB3_9 Depth=1
	s_or_b32 exec_lo, exec_lo, s11
	v_cmp_gt_u32_e32 vcc_lo, s6, v14
	s_and_saveexec_b32 s6, vcc_lo
	s_cbranch_execz .LBB3_29
.LBB3_28:                               ;   in Loop: Header=BB3_9 Depth=1
	s_waitcnt lgkmcnt(0)
	global_store_b8 v[3:4], v33, off offset:6
.LBB3_29:                               ;   in Loop: Header=BB3_9 Depth=1
	s_or_b32 exec_lo, exec_lo, s6
	s_lshl_b64 s[12:13], s[8:9], 3
	s_delay_alu instid0(SALU_CYCLE_1) | instskip(NEXT) | instid1(VALU_DEP_1)
	v_add_co_u32 v3, s6, v15, s12
	v_add_co_ci_u32_e64 v4, s6, s13, v16, s6
	s_and_saveexec_b32 s6, s5
	s_cbranch_execnz .LBB3_42
; %bb.30:                               ;   in Loop: Header=BB3_9 Depth=1
	s_or_b32 exec_lo, exec_lo, s6
	s_and_saveexec_b32 s5, s4
	s_cbranch_execnz .LBB3_43
.LBB3_31:                               ;   in Loop: Header=BB3_9 Depth=1
	s_or_b32 exec_lo, exec_lo, s5
	s_and_saveexec_b32 s4, s3
	s_cbranch_execnz .LBB3_44
.LBB3_32:                               ;   in Loop: Header=BB3_9 Depth=1
	s_or_b32 exec_lo, exec_lo, s4
	s_and_saveexec_b32 s3, s2
	s_cbranch_execnz .LBB3_45
.LBB3_33:                               ;   in Loop: Header=BB3_9 Depth=1
	s_or_b32 exec_lo, exec_lo, s3
	s_and_saveexec_b32 s2, s1
	s_cbranch_execnz .LBB3_46
.LBB3_34:                               ;   in Loop: Header=BB3_9 Depth=1
	s_or_b32 exec_lo, exec_lo, s2
	s_and_saveexec_b32 s1, s0
	s_cbranch_execnz .LBB3_47
.LBB3_35:                               ;   in Loop: Header=BB3_9 Depth=1
	s_or_b32 exec_lo, exec_lo, s1
	s_and_saveexec_b32 s0, vcc_lo
	s_cbranch_execz .LBB3_8
	s_branch .LBB3_48
.LBB3_36:                               ;   in Loop: Header=BB3_9 Depth=1
	global_store_b8 v[3:4], v25, off
	s_or_b32 exec_lo, exec_lo, s0
	v_cmp_gt_u32_e64 s4, s6, v9
	s_delay_alu instid0(VALU_DEP_1)
	s_and_saveexec_b32 s0, s4
	s_cbranch_execz .LBB3_23
.LBB3_37:                               ;   in Loop: Header=BB3_9 Depth=1
	global_store_b8 v[3:4], v26, off offset:1
	s_or_b32 exec_lo, exec_lo, s0
	v_cmp_gt_u32_e64 s3, s6, v10
	s_delay_alu instid0(VALU_DEP_1)
	s_and_saveexec_b32 s0, s3
	s_cbranch_execz .LBB3_24
.LBB3_38:                               ;   in Loop: Header=BB3_9 Depth=1
	global_store_b8 v[3:4], v28, off offset:2
	s_or_b32 exec_lo, exec_lo, s0
	v_cmp_gt_u32_e64 s2, s6, v11
	s_delay_alu instid0(VALU_DEP_1)
	s_and_saveexec_b32 s0, s2
	s_cbranch_execz .LBB3_25
.LBB3_39:                               ;   in Loop: Header=BB3_9 Depth=1
	global_store_b8 v[3:4], v30, off offset:3
	s_or_b32 exec_lo, exec_lo, s0
	v_cmp_gt_u32_e64 s1, s6, v12
	s_delay_alu instid0(VALU_DEP_1)
	s_and_saveexec_b32 s0, s1
	s_cbranch_execz .LBB3_26
.LBB3_40:                               ;   in Loop: Header=BB3_9 Depth=1
	global_store_b8 v[3:4], v31, off offset:4
	s_or_b32 exec_lo, exec_lo, s0
	v_cmp_gt_u32_e64 s0, s6, v13
	s_delay_alu instid0(VALU_DEP_1)
	s_and_saveexec_b32 s11, s0
	s_cbranch_execz .LBB3_27
.LBB3_41:                               ;   in Loop: Header=BB3_9 Depth=1
	global_store_b8 v[3:4], v32, off offset:5
	s_or_b32 exec_lo, exec_lo, s11
	v_cmp_gt_u32_e32 vcc_lo, s6, v14
	s_and_saveexec_b32 s6, vcc_lo
	s_cbranch_execnz .LBB3_28
	s_branch .LBB3_29
.LBB3_42:                               ;   in Loop: Header=BB3_9 Depth=1
	global_store_b64 v[3:4], v[0:1], off
	s_or_b32 exec_lo, exec_lo, s6
	s_and_saveexec_b32 s5, s4
	s_cbranch_execz .LBB3_31
.LBB3_43:                               ;   in Loop: Header=BB3_9 Depth=1
	v_add_nc_u32_e32 v0, 1, v20
	global_store_b64 v[3:4], v[0:1], off offset:8
	s_or_b32 exec_lo, exec_lo, s5
	s_and_saveexec_b32 s4, s3
	s_cbranch_execz .LBB3_32
.LBB3_44:                               ;   in Loop: Header=BB3_9 Depth=1
	v_add_nc_u32_e32 v0, 2, v21
	global_store_b64 v[3:4], v[0:1], off offset:16
	s_or_b32 exec_lo, exec_lo, s4
	s_and_saveexec_b32 s3, s2
	s_cbranch_execz .LBB3_33
.LBB3_45:                               ;   in Loop: Header=BB3_9 Depth=1
	v_add_nc_u32_e32 v0, 3, v22
	global_store_b64 v[3:4], v[0:1], off offset:24
	s_or_b32 exec_lo, exec_lo, s3
	s_and_saveexec_b32 s2, s1
	s_cbranch_execz .LBB3_34
.LBB3_46:                               ;   in Loop: Header=BB3_9 Depth=1
	v_add_nc_u32_e32 v0, 4, v23
	global_store_b64 v[3:4], v[0:1], off offset:32
	s_or_b32 exec_lo, exec_lo, s2
	s_and_saveexec_b32 s1, s0
	s_cbranch_execz .LBB3_35
.LBB3_47:                               ;   in Loop: Header=BB3_9 Depth=1
	v_add_nc_u32_e32 v0, 5, v24
	global_store_b64 v[3:4], v[0:1], off offset:40
	s_or_b32 exec_lo, exec_lo, s1
	s_and_saveexec_b32 s0, vcc_lo
	s_cbranch_execz .LBB3_8
.LBB3_48:                               ;   in Loop: Header=BB3_9 Depth=1
	v_add_nc_u32_e32 v0, 6, v27
	global_store_b64 v[3:4], v[0:1], off offset:48
	s_branch .LBB3_8
.LBB3_49:
	s_nop 0
	s_sendmsg sendmsg(MSG_DEALLOC_VGPRS)
	s_endpgm
	.section	.rodata,"a",@progbits
	.p2align	6, 0x0
	.amdhsa_kernel _Z30block_run_length_decode_kernelIcxLj256ELj9ELj7EEvPKT_PKT0_PS0_PS3_
		.amdhsa_group_segment_fixed_size 11520
		.amdhsa_private_segment_fixed_size 0
		.amdhsa_kernarg_size 32
		.amdhsa_user_sgpr_count 15
		.amdhsa_user_sgpr_dispatch_ptr 0
		.amdhsa_user_sgpr_queue_ptr 0
		.amdhsa_user_sgpr_kernarg_segment_ptr 1
		.amdhsa_user_sgpr_dispatch_id 0
		.amdhsa_user_sgpr_private_segment_size 0
		.amdhsa_wavefront_size32 1
		.amdhsa_uses_dynamic_stack 0
		.amdhsa_enable_private_segment 0
		.amdhsa_system_sgpr_workgroup_id_x 1
		.amdhsa_system_sgpr_workgroup_id_y 0
		.amdhsa_system_sgpr_workgroup_id_z 0
		.amdhsa_system_sgpr_workgroup_info 0
		.amdhsa_system_vgpr_workitem_id 0
		.amdhsa_next_free_vgpr 34
		.amdhsa_next_free_sgpr 16
		.amdhsa_reserve_vcc 1
		.amdhsa_float_round_mode_32 0
		.amdhsa_float_round_mode_16_64 0
		.amdhsa_float_denorm_mode_32 3
		.amdhsa_float_denorm_mode_16_64 3
		.amdhsa_dx10_clamp 1
		.amdhsa_ieee_mode 1
		.amdhsa_fp16_overflow 0
		.amdhsa_workgroup_processor_mode 1
		.amdhsa_memory_ordered 1
		.amdhsa_forward_progress 0
		.amdhsa_shared_vgpr_count 0
		.amdhsa_exception_fp_ieee_invalid_op 0
		.amdhsa_exception_fp_denorm_src 0
		.amdhsa_exception_fp_ieee_div_zero 0
		.amdhsa_exception_fp_ieee_overflow 0
		.amdhsa_exception_fp_ieee_underflow 0
		.amdhsa_exception_fp_ieee_inexact 0
		.amdhsa_exception_int_div_zero 0
	.end_amdhsa_kernel
	.section	.text._Z30block_run_length_decode_kernelIcxLj256ELj9ELj7EEvPKT_PKT0_PS0_PS3_,"axG",@progbits,_Z30block_run_length_decode_kernelIcxLj256ELj9ELj7EEvPKT_PKT0_PS0_PS3_,comdat
.Lfunc_end3:
	.size	_Z30block_run_length_decode_kernelIcxLj256ELj9ELj7EEvPKT_PKT0_PS0_PS3_, .Lfunc_end3-_Z30block_run_length_decode_kernelIcxLj256ELj9ELj7EEvPKT_PKT0_PS0_PS3_
                                        ; -- End function
	.section	.AMDGPU.csdata,"",@progbits
; Kernel info:
; codeLenInByte = 3188
; NumSgprs: 18
; NumVgprs: 34
; ScratchSize: 0
; MemoryBound: 0
; FloatMode: 240
; IeeeMode: 1
; LDSByteSize: 11520 bytes/workgroup (compile time only)
; SGPRBlocks: 2
; VGPRBlocks: 4
; NumSGPRsForWavesPerEU: 18
; NumVGPRsForWavesPerEU: 34
; Occupancy: 16
; WaveLimiterHint : 0
; COMPUTE_PGM_RSRC2:SCRATCH_EN: 0
; COMPUTE_PGM_RSRC2:USER_SGPR: 15
; COMPUTE_PGM_RSRC2:TRAP_HANDLER: 0
; COMPUTE_PGM_RSRC2:TGID_X_EN: 1
; COMPUTE_PGM_RSRC2:TGID_Y_EN: 0
; COMPUTE_PGM_RSRC2:TGID_Z_EN: 0
; COMPUTE_PGM_RSRC2:TIDIG_COMP_CNT: 0
	.section	.text._Z30block_run_length_decode_kernelIdcLj256ELj9ELj7EEvPKT_PKT0_PS0_PS3_,"axG",@progbits,_Z30block_run_length_decode_kernelIdcLj256ELj9ELj7EEvPKT_PKT0_PS0_PS3_,comdat
	.protected	_Z30block_run_length_decode_kernelIdcLj256ELj9ELj7EEvPKT_PKT0_PS0_PS3_ ; -- Begin function _Z30block_run_length_decode_kernelIdcLj256ELj9ELj7EEvPKT_PKT0_PS0_PS3_
	.globl	_Z30block_run_length_decode_kernelIdcLj256ELj9ELj7EEvPKT_PKT0_PS0_PS3_
	.p2align	8
	.type	_Z30block_run_length_decode_kernelIdcLj256ELj9ELj7EEvPKT_PKT0_PS0_PS3_,@function
_Z30block_run_length_decode_kernelIdcLj256ELj9ELj7EEvPKT_PKT0_PS0_PS3_: ; @_Z30block_run_length_decode_kernelIdcLj256ELj9ELj7EEvPKT_PKT0_PS0_PS3_
; %bb.0:
	s_load_b256 s[0:7], s[0:1], 0x0
	v_lshl_or_b32 v19, s15, 8, v0
	v_or_b32_e32 v32, 31, v0
	s_delay_alu instid0(VALU_DEP_2)
	v_lshl_add_u32 v1, v19, 3, v19
	s_waitcnt lgkmcnt(0)
	s_clause 0x1
	global_load_b64 v[28:29], v1, s[2:3]
	global_load_i8 v30, v1, s[2:3] offset:8
	s_waitcnt vmcnt(1)
	v_bfe_i32 v26, v28, 0, 8
	v_bfe_i32 v27, v28, 8, 8
	;; [unrolled: 1-line block ×3, first 2 shown]
	v_ashrrev_i32_e32 v24, 24, v28
	v_bfe_i32 v22, v29, 0, 8
	v_bfe_i32 v23, v29, 8, 8
	;; [unrolled: 1-line block ×3, first 2 shown]
	v_add3_u32 v20, v27, v26, v25
	s_delay_alu instid0(VALU_DEP_1) | instskip(SKIP_1) | instid1(VALU_DEP_2)
	v_add3_u32 v28, v20, v24, v22
	v_ashrrev_i32_e32 v20, 24, v29
	v_add3_u32 v29, v28, v23, v21
	v_mbcnt_lo_u32_b32 v28, -1, 0
	s_waitcnt vmcnt(0)
	s_delay_alu instid0(VALU_DEP_2) | instskip(NEXT) | instid1(VALU_DEP_2)
	v_add3_u32 v29, v29, v20, v30
	v_and_b32_e32 v30, 15, v28
	s_delay_alu instid0(VALU_DEP_2) | instskip(SKIP_1) | instid1(VALU_DEP_1)
	v_mov_b32_dpp v31, v29 row_shr:1 row_mask:0xf bank_mask:0xf
	v_mov_b32_e32 v2, 0
	v_lshlrev_b64 v[1:2], 3, v[1:2]
	s_delay_alu instid0(VALU_DEP_1) | instskip(NEXT) | instid1(VALU_DEP_2)
	v_add_co_u32 v17, vcc_lo, s0, v1
	v_add_co_ci_u32_e32 v18, vcc_lo, s1, v2, vcc_lo
	s_clause 0x4
	global_load_b128 v[1:4], v[17:18], off offset:48
	global_load_b128 v[5:8], v[17:18], off offset:32
	;; [unrolled: 1-line block ×3, first 2 shown]
	global_load_b128 v[13:16], v[17:18], off
	global_load_b64 v[17:18], v[17:18], off offset:64
	v_cmp_ne_u32_e32 vcc_lo, 0, v30
	s_mov_b32 s0, exec_lo
	v_cndmask_b32_e32 v31, 0, v31, vcc_lo
	v_cmp_lt_u32_e32 vcc_lo, 1, v30
	s_delay_alu instid0(VALU_DEP_2) | instskip(NEXT) | instid1(VALU_DEP_1)
	v_add_nc_u32_e32 v29, v31, v29
	v_mov_b32_dpp v31, v29 row_shr:2 row_mask:0xf bank_mask:0xf
	s_delay_alu instid0(VALU_DEP_1) | instskip(SKIP_1) | instid1(VALU_DEP_2)
	v_cndmask_b32_e32 v31, 0, v31, vcc_lo
	v_cmp_lt_u32_e32 vcc_lo, 3, v30
	v_add_nc_u32_e32 v29, v29, v31
	s_delay_alu instid0(VALU_DEP_1) | instskip(NEXT) | instid1(VALU_DEP_1)
	v_mov_b32_dpp v31, v29 row_shr:4 row_mask:0xf bank_mask:0xf
	v_cndmask_b32_e32 v31, 0, v31, vcc_lo
	v_cmp_lt_u32_e32 vcc_lo, 7, v30
	s_delay_alu instid0(VALU_DEP_2) | instskip(NEXT) | instid1(VALU_DEP_1)
	v_add_nc_u32_e32 v29, v29, v31
	v_mov_b32_dpp v31, v29 row_shr:8 row_mask:0xf bank_mask:0xf
	s_delay_alu instid0(VALU_DEP_1) | instskip(SKIP_1) | instid1(VALU_DEP_2)
	v_cndmask_b32_e32 v30, 0, v31, vcc_lo
	v_bfe_i32 v31, v28, 4, 1
	v_add_nc_u32_e32 v29, v29, v30
	ds_swizzle_b32 v30, v29 offset:swizzle(BROADCAST,32,15)
	s_waitcnt lgkmcnt(0)
	v_and_b32_e32 v30, v31, v30
	v_lshrrev_b32_e32 v31, 5, v0
	s_delay_alu instid0(VALU_DEP_2)
	v_add_nc_u32_e32 v29, v29, v30
	v_cmpx_eq_u32_e64 v32, v0
	s_cbranch_execz .LBB4_2
; %bb.1:
	s_delay_alu instid0(VALU_DEP_3)
	v_lshlrev_b32_e32 v30, 2, v31
	ds_store_b32 v30, v29
.LBB4_2:
	s_or_b32 exec_lo, exec_lo, s0
	s_delay_alu instid0(SALU_CYCLE_1)
	s_mov_b32 s0, exec_lo
	s_waitcnt vmcnt(0) lgkmcnt(0)
	s_barrier
	buffer_gl0_inv
	v_cmpx_gt_u32_e32 8, v0
	s_cbranch_execz .LBB4_4
; %bb.3:
	v_lshlrev_b32_e32 v30, 2, v0
	ds_load_b32 v32, v30
	s_waitcnt lgkmcnt(0)
	v_mov_b32_dpp v34, v32 row_shr:1 row_mask:0xf bank_mask:0xf
	v_and_b32_e32 v33, 7, v28
	s_delay_alu instid0(VALU_DEP_1) | instskip(NEXT) | instid1(VALU_DEP_3)
	v_cmp_ne_u32_e32 vcc_lo, 0, v33
	v_cndmask_b32_e32 v34, 0, v34, vcc_lo
	v_cmp_lt_u32_e32 vcc_lo, 1, v33
	s_delay_alu instid0(VALU_DEP_2) | instskip(NEXT) | instid1(VALU_DEP_1)
	v_add_nc_u32_e32 v32, v34, v32
	v_mov_b32_dpp v34, v32 row_shr:2 row_mask:0xf bank_mask:0xf
	s_delay_alu instid0(VALU_DEP_1) | instskip(SKIP_1) | instid1(VALU_DEP_2)
	v_cndmask_b32_e32 v34, 0, v34, vcc_lo
	v_cmp_lt_u32_e32 vcc_lo, 3, v33
	v_add_nc_u32_e32 v32, v32, v34
	s_delay_alu instid0(VALU_DEP_1) | instskip(NEXT) | instid1(VALU_DEP_1)
	v_mov_b32_dpp v34, v32 row_shr:4 row_mask:0xf bank_mask:0xf
	v_cndmask_b32_e32 v33, 0, v34, vcc_lo
	s_delay_alu instid0(VALU_DEP_1)
	v_add_nc_u32_e32 v32, v32, v33
	ds_store_b32 v30, v32
.LBB4_4:
	s_or_b32 exec_lo, exec_lo, s0
	v_mov_b32_e32 v30, 0
	v_mov_b32_e32 v32, 0
	s_mov_b32 s0, exec_lo
	s_waitcnt lgkmcnt(0)
	s_barrier
	buffer_gl0_inv
	v_cmpx_lt_u32_e32 31, v0
	s_cbranch_execz .LBB4_6
; %bb.5:
	v_lshl_add_u32 v31, v31, 2, -4
	ds_load_b32 v32, v31
.LBB4_6:
	s_or_b32 exec_lo, exec_lo, s0
	v_add_nc_u32_e32 v31, -1, v28
	s_waitcnt lgkmcnt(0)
	v_add_nc_u32_e32 v29, v32, v29
	s_mov_b32 s9, 0
	s_delay_alu instid0(VALU_DEP_2) | instskip(SKIP_2) | instid1(VALU_DEP_2)
	v_cmp_gt_i32_e32 vcc_lo, 0, v31
	v_cndmask_b32_e32 v31, v31, v28, vcc_lo
	v_cmp_eq_u32_e32 vcc_lo, 0, v28
	v_lshlrev_b32_e32 v31, 2, v31
	ds_bpermute_b32 v29, v31, v29
	s_waitcnt lgkmcnt(0)
	v_cndmask_b32_e32 v28, v29, v32, vcc_lo
	v_cmp_ne_u32_e32 vcc_lo, 0, v0
	ds_load_b32 v29, v30 offset:28
	v_mul_u32_u24_e32 v30, 9, v0
	s_waitcnt lgkmcnt(0)
	s_barrier
	v_cndmask_b32_e32 v28, 0, v28, vcc_lo
	buffer_gl0_inv
	v_lshlrev_b32_e32 v31, 3, v30
	v_lshlrev_b32_e32 v30, 2, v30
	v_add_nc_u32_e32 v26, v28, v26
	ds_store_b64 v31, v[13:14]
	ds_store_b32 v30, v28 offset:18432
	ds_store_b64 v31, v[15:16] offset:8
	ds_store_b32 v30, v26 offset:18436
	ds_store_b64 v31, v[9:10] offset:16
	v_add_nc_u32_e32 v27, v26, v27
	s_delay_alu instid0(VALU_DEP_1)
	v_add_nc_u32_e32 v25, v27, v25
	v_cmp_eq_u32_e32 vcc_lo, 0, v29
	ds_store_b32 v30, v27 offset:18440
	ds_store_b64 v31, v[11:12] offset:24
	ds_store_b32 v30, v25 offset:18444
	ds_store_b64 v31, v[5:6] offset:32
	v_readfirstlane_b32 s10, v29
	v_add_nc_u32_e32 v24, v25, v24
	s_and_b32 vcc_lo, exec_lo, vcc_lo
	s_delay_alu instid0(VALU_DEP_1)
	v_add_nc_u32_e32 v13, v24, v22
	ds_store_b32 v30, v24 offset:18448
	ds_store_b64 v31, v[7:8] offset:40
	ds_store_b32 v30, v13 offset:18452
	ds_store_b64 v31, v[1:2] offset:48
	v_add_nc_u32_e32 v9, v13, v23
	s_delay_alu instid0(VALU_DEP_1) | instskip(NEXT) | instid1(VALU_DEP_1)
	v_add_nc_u32_e32 v5, v9, v21
	v_add_nc_u32_e32 v1, v5, v20
	ds_store_b32 v30, v9 offset:18456
	ds_store_b64 v31, v[3:4] offset:56
	ds_store_b32 v30, v5 offset:18460
	ds_store_b64 v31, v[17:18] offset:64
	ds_store_b32 v30, v1 offset:18464
	s_waitcnt lgkmcnt(0)
	s_barrier
	buffer_gl0_inv
	s_cbranch_vccnz .LBB4_49
; %bb.7:
	v_mul_lo_u32 v1, v19, 7
	v_mov_b32_e32 v2, 0
	v_mul_u32_u24_e32 v0, 7, v0
	s_mov_b32 s8, s9
	v_mov_b32_e32 v31, 0x480
	s_delay_alu instid0(VALU_DEP_4)
	v_dual_mov_b32 v32, 0x240 :: v_dual_add_nc_u32 v21, 1, v1
	ds_load_b32 v20, v2 offset:23040
	v_lshlrev_b64 v[2:3], 3, v[1:2]
	v_add_co_u32 v29, s0, s6, v1
	v_add_nc_u32_e32 v22, 2, v1
	v_add_nc_u32_e32 v23, 3, v1
	;; [unrolled: 1-line block ×3, first 2 shown]
	v_add_co_u32 v26, vcc_lo, s4, v2
	v_add_nc_u32_e32 v25, 5, v1
	v_add_co_ci_u32_e32 v27, vcc_lo, s5, v3, vcc_lo
	v_add_nc_u32_e32 v28, 6, v1
	v_add_co_ci_u32_e64 v30, null, s7, 0, s0
	s_mov_b32 s7, s10
	s_branch .LBB4_9
.LBB4_8:                                ;   in Loop: Header=BB4_9 Depth=1
	s_or_b32 exec_lo, exec_lo, s0
	s_addk_i32 s8, 0x700
	s_addk_i32 s7, 0xf900
	s_cmp_lt_u32 s8, s10
	s_cbranch_scc0 .LBB4_49
.LBB4_9:                                ; =>This Inner Loop Header: Depth=1
	v_add_nc_u32_e32 v18, s8, v0
	s_waitcnt lgkmcnt(0)
	s_delay_alu instid0(VALU_DEP_1) | instskip(SKIP_3) | instid1(VALU_DEP_3)
	v_cmp_gt_u32_e32 vcc_lo, v20, v18
	v_cndmask_b32_e32 v3, 0x6c0, v32, vcc_lo
	v_cndmask_b32_e64 v2, 0x481, 0, vcc_lo
	v_cndmask_b32_e32 v5, 0x900, v31, vcc_lo
	v_lshlrev_b32_e32 v4, 2, v3
	v_or_b32_e32 v6, 1, v3
	ds_load_b32 v4, v4 offset:18432
	s_waitcnt lgkmcnt(0)
	v_cmp_gt_u32_e32 vcc_lo, v4, v18
	v_dual_cndmask_b32 v2, v6, v2 :: v_dual_cndmask_b32 v3, v5, v3
	s_delay_alu instid0(VALU_DEP_1) | instskip(NEXT) | instid1(VALU_DEP_1)
	v_sub_nc_u32_e32 v4, v3, v2
	v_lshrrev_b16 v5, 15, v4
	s_delay_alu instid0(VALU_DEP_1) | instskip(NEXT) | instid1(VALU_DEP_1)
	v_add_nc_u16 v4, v4, v5
	v_ashrrev_i16 v4, 1, v4
	s_delay_alu instid0(VALU_DEP_1) | instskip(NEXT) | instid1(VALU_DEP_1)
	v_bfe_i32 v4, v4, 0, 16
	v_add_nc_u32_e32 v4, v2, v4
	s_delay_alu instid0(VALU_DEP_1) | instskip(NEXT) | instid1(VALU_DEP_1)
	v_min_i32_e32 v4, 0x8ff, v4
	v_lshlrev_b32_e32 v5, 2, v4
	v_add_nc_u32_e32 v6, 1, v4
	ds_load_b32 v5, v5 offset:18432
	s_waitcnt lgkmcnt(0)
	v_cmp_gt_u32_e32 vcc_lo, v5, v18
	v_dual_cndmask_b32 v2, v6, v2 :: v_dual_cndmask_b32 v3, v3, v4
	s_delay_alu instid0(VALU_DEP_1) | instskip(NEXT) | instid1(VALU_DEP_1)
	v_sub_nc_u32_e32 v4, v3, v2
	v_lshrrev_b16 v5, 15, v4
	s_delay_alu instid0(VALU_DEP_1) | instskip(NEXT) | instid1(VALU_DEP_1)
	v_add_nc_u16 v4, v4, v5
	v_ashrrev_i16 v4, 1, v4
	s_delay_alu instid0(VALU_DEP_1) | instskip(NEXT) | instid1(VALU_DEP_1)
	v_bfe_i32 v4, v4, 0, 16
	v_add_nc_u32_e32 v4, v2, v4
	s_delay_alu instid0(VALU_DEP_1) | instskip(NEXT) | instid1(VALU_DEP_1)
	v_min_i32_e32 v4, 0x8ff, v4
	v_add_nc_u32_e32 v6, 1, v4
	v_lshlrev_b32_e32 v5, 2, v4
	ds_load_b32 v5, v5 offset:18432
	s_waitcnt lgkmcnt(0)
	v_cmp_gt_u32_e32 vcc_lo, v5, v18
	v_dual_cndmask_b32 v2, v6, v2 :: v_dual_cndmask_b32 v3, v3, v4
	s_delay_alu instid0(VALU_DEP_1) | instskip(NEXT) | instid1(VALU_DEP_1)
	v_sub_nc_u32_e32 v4, v3, v2
	v_lshrrev_b16 v5, 15, v4
	s_delay_alu instid0(VALU_DEP_1) | instskip(NEXT) | instid1(VALU_DEP_1)
	v_add_nc_u16 v4, v4, v5
	v_ashrrev_i16 v4, 1, v4
	s_delay_alu instid0(VALU_DEP_1) | instskip(NEXT) | instid1(VALU_DEP_1)
	v_bfe_i32 v4, v4, 0, 16
	v_add_nc_u32_e32 v4, v2, v4
	s_delay_alu instid0(VALU_DEP_1) | instskip(NEXT) | instid1(VALU_DEP_1)
	v_min_i32_e32 v4, 0x8ff, v4
	v_lshlrev_b32_e32 v5, 2, v4
	v_add_nc_u32_e32 v6, 1, v4
	ds_load_b32 v5, v5 offset:18432
	s_waitcnt lgkmcnt(0)
	v_cmp_gt_u32_e32 vcc_lo, v5, v18
	v_dual_cndmask_b32 v2, v6, v2 :: v_dual_cndmask_b32 v3, v3, v4
	s_delay_alu instid0(VALU_DEP_1) | instskip(NEXT) | instid1(VALU_DEP_1)
	v_sub_nc_u32_e32 v4, v3, v2
	v_lshrrev_b16 v5, 15, v4
	s_delay_alu instid0(VALU_DEP_1) | instskip(NEXT) | instid1(VALU_DEP_1)
	v_add_nc_u16 v4, v4, v5
	v_ashrrev_i16 v4, 1, v4
	s_delay_alu instid0(VALU_DEP_1) | instskip(NEXT) | instid1(VALU_DEP_1)
	v_bfe_i32 v4, v4, 0, 16
	v_add_nc_u32_e32 v4, v2, v4
	s_delay_alu instid0(VALU_DEP_1) | instskip(NEXT) | instid1(VALU_DEP_1)
	v_min_i32_e32 v4, 0x8ff, v4
	v_lshlrev_b32_e32 v5, 2, v4
	v_add_nc_u32_e32 v6, 1, v4
	;; [unrolled: 17-line block ×5, first 2 shown]
	ds_load_b32 v5, v5 offset:18432
	s_waitcnt lgkmcnt(0)
	v_cmp_gt_u32_e32 vcc_lo, v5, v18
	v_dual_cndmask_b32 v2, v6, v2 :: v_dual_cndmask_b32 v3, v3, v4
	s_delay_alu instid0(VALU_DEP_1) | instskip(NEXT) | instid1(VALU_DEP_1)
	v_sub_nc_u32_e32 v4, v3, v2
	v_lshrrev_b32_e32 v5, 31, v4
	s_delay_alu instid0(VALU_DEP_1) | instskip(NEXT) | instid1(VALU_DEP_1)
	v_add_nc_u32_e32 v4, v4, v5
	v_ashrrev_i32_e32 v4, 1, v4
	s_delay_alu instid0(VALU_DEP_1) | instskip(NEXT) | instid1(VALU_DEP_1)
	v_add_nc_u32_e32 v4, v4, v2
	v_min_i32_e32 v4, 0x8ff, v4
	s_delay_alu instid0(VALU_DEP_1)
	v_lshlrev_b32_e32 v5, 2, v4
	v_add_nc_u32_e32 v6, 1, v4
	ds_load_b32 v5, v5 offset:18432
	s_waitcnt lgkmcnt(0)
	v_cmp_gt_u32_e32 vcc_lo, v5, v18
	v_dual_cndmask_b32 v2, v6, v2 :: v_dual_cndmask_b32 v3, v3, v4
	s_delay_alu instid0(VALU_DEP_1) | instskip(NEXT) | instid1(VALU_DEP_1)
	v_sub_nc_u32_e32 v4, v3, v2
	v_lshrrev_b32_e32 v5, 31, v4
	s_delay_alu instid0(VALU_DEP_1) | instskip(NEXT) | instid1(VALU_DEP_1)
	v_add_nc_u32_e32 v4, v4, v5
	v_ashrrev_i32_e32 v4, 1, v4
	s_delay_alu instid0(VALU_DEP_1) | instskip(NEXT) | instid1(VALU_DEP_1)
	v_add_nc_u32_e32 v4, v4, v2
	v_min_i32_e32 v4, 0x8ff, v4
	s_delay_alu instid0(VALU_DEP_1)
	v_lshlrev_b32_e32 v5, 2, v4
	v_add_nc_u32_e32 v6, 1, v4
	;; [unrolled: 16-line block ×3, first 2 shown]
	ds_load_b32 v5, v5 offset:18432
	s_waitcnt lgkmcnt(0)
	v_cmp_gt_u32_e32 vcc_lo, v5, v18
	v_dual_cndmask_b32 v2, v6, v2 :: v_dual_cndmask_b32 v3, v3, v4
	v_add_nc_u32_e32 v6, 1, v18
	s_delay_alu instid0(VALU_DEP_2) | instskip(NEXT) | instid1(VALU_DEP_1)
	v_sub_nc_u32_e32 v3, v3, v2
	v_lshrrev_b32_e32 v4, 31, v3
	s_delay_alu instid0(VALU_DEP_1) | instskip(NEXT) | instid1(VALU_DEP_1)
	v_add_nc_u32_e32 v3, v3, v4
	v_ashrrev_i32_e32 v3, 1, v3
	s_delay_alu instid0(VALU_DEP_1) | instskip(NEXT) | instid1(VALU_DEP_1)
	v_add_nc_u32_e32 v3, v3, v2
	v_min_i32_e32 v3, 0x8ff, v3
	s_delay_alu instid0(VALU_DEP_1)
	v_lshlrev_b32_e32 v4, 2, v3
	v_add_nc_u32_e32 v3, 1, v3
	ds_load_b32 v4, v4 offset:18432
	s_waitcnt lgkmcnt(0)
	v_cmp_gt_u32_e32 vcc_lo, v4, v18
	v_cndmask_b32_e32 v19, v3, v2, vcc_lo
	s_delay_alu instid0(VALU_DEP_1) | instskip(SKIP_1) | instid1(VALU_DEP_2)
	v_lshlrev_b32_e32 v8, 2, v19
	v_lshl_add_u32 v4, v19, 3, -8
	v_add_nc_u32_e32 v2, 0x47fc, v8
	ds_load_2addr_b32 v[2:3], v2 offset1:1
	ds_load_b64 v[4:5], v4
	s_waitcnt lgkmcnt(1)
	v_cmp_eq_u32_e32 vcc_lo, v6, v3
	s_waitcnt lgkmcnt(0)
	v_mov_b32_e32 v7, v5
	v_dual_mov_b32 v9, v2 :: v_dual_mov_b32 v6, v4
	s_and_saveexec_b32 s0, vcc_lo
	s_cbranch_execz .LBB4_11
; %bb.10:                               ;   in Loop: Header=BB4_9 Depth=1
	v_dual_mov_b32 v9, v3 :: v_dual_lshlrev_b32 v6, 3, v19
	v_add_nc_u32_e32 v19, 1, v19
	ds_load_b32 v8, v8 offset:18436
	ds_load_b64 v[6:7], v6
	s_waitcnt lgkmcnt(1)
	v_mov_b32_e32 v3, v8
.LBB4_11:                               ;   in Loop: Header=BB4_9 Depth=1
	s_or_b32 exec_lo, exec_lo, s0
	s_delay_alu instid0(VALU_DEP_1) | instskip(NEXT) | instid1(VALU_DEP_1)
	v_sub_nc_u32_e32 v34, v18, v9
	v_dual_mov_b32 v33, v34 :: v_dual_add_nc_u32 v8, 2, v18
	s_delay_alu instid0(VALU_DEP_1)
	v_cmp_eq_u32_e32 vcc_lo, v8, v3
	s_waitcnt lgkmcnt(0)
	v_dual_mov_b32 v9, v7 :: v_dual_mov_b32 v8, v6
	s_and_saveexec_b32 s0, vcc_lo
	s_cbranch_execz .LBB4_13
; %bb.12:                               ;   in Loop: Header=BB4_9 Depth=1
	v_add_nc_u32_e32 v10, 1, v19
	v_lshlrev_b32_e32 v9, 3, v19
	v_sub_nc_u32_e32 v33, v18, v3
	s_delay_alu instid0(VALU_DEP_3)
	v_lshlrev_b32_e32 v8, 2, v10
	ds_load_b32 v11, v8 offset:18432
	ds_load_b64 v[8:9], v9
	s_waitcnt lgkmcnt(1)
	v_mov_b32_e32 v3, v11
	v_mov_b32_e32 v19, v10
.LBB4_13:                               ;   in Loop: Header=BB4_9 Depth=1
	s_or_b32 exec_lo, exec_lo, s0
	v_dual_mov_b32 v35, v33 :: v_dual_add_nc_u32 v10, 3, v18
	s_delay_alu instid0(VALU_DEP_1)
	v_cmp_eq_u32_e32 vcc_lo, v10, v3
	s_waitcnt lgkmcnt(0)
	v_dual_mov_b32 v11, v9 :: v_dual_mov_b32 v10, v8
	s_and_saveexec_b32 s0, vcc_lo
	s_cbranch_execz .LBB4_15
; %bb.14:                               ;   in Loop: Header=BB4_9 Depth=1
	v_lshl_add_u32 v3, v19, 2, 0x4800
	ds_load_2addr_b32 v[12:13], v3 offset1:1
	v_lshlrev_b32_e32 v3, 3, v19
	v_add_nc_u32_e32 v19, 1, v19
	ds_load_b64 v[10:11], v3
	s_waitcnt lgkmcnt(1)
	v_sub_nc_u32_e32 v35, v18, v12
	v_mov_b32_e32 v3, v13
.LBB4_15:                               ;   in Loop: Header=BB4_9 Depth=1
	s_or_b32 exec_lo, exec_lo, s0
	v_add_nc_u32_e32 v12, 4, v18
	s_delay_alu instid0(VALU_DEP_3) | instskip(NEXT) | instid1(VALU_DEP_2)
	v_mov_b32_e32 v36, v35
	v_cmp_eq_u32_e32 vcc_lo, v12, v3
	s_waitcnt lgkmcnt(0)
	v_dual_mov_b32 v13, v11 :: v_dual_mov_b32 v12, v10
	s_and_saveexec_b32 s0, vcc_lo
	s_cbranch_execz .LBB4_17
; %bb.16:                               ;   in Loop: Header=BB4_9 Depth=1
	v_lshl_add_u32 v3, v19, 2, 0x4800
	ds_load_2addr_b32 v[14:15], v3 offset1:1
	v_lshlrev_b32_e32 v3, 3, v19
	v_add_nc_u32_e32 v19, 1, v19
	ds_load_b64 v[12:13], v3
	s_waitcnt lgkmcnt(1)
	v_sub_nc_u32_e32 v36, v18, v14
	v_mov_b32_e32 v3, v15
.LBB4_17:                               ;   in Loop: Header=BB4_9 Depth=1
	s_or_b32 exec_lo, exec_lo, s0
	s_delay_alu instid0(VALU_DEP_2) | instskip(NEXT) | instid1(VALU_DEP_1)
	v_dual_mov_b32 v37, v36 :: v_dual_add_nc_u32 v14, 5, v18
	v_cmp_eq_u32_e32 vcc_lo, v14, v3
	s_waitcnt lgkmcnt(0)
	v_dual_mov_b32 v15, v13 :: v_dual_mov_b32 v14, v12
	s_and_saveexec_b32 s0, vcc_lo
	s_cbranch_execz .LBB4_19
; %bb.18:                               ;   in Loop: Header=BB4_9 Depth=1
	v_lshl_add_u32 v3, v19, 2, 0x4800
	ds_load_2addr_b32 v[16:17], v3 offset1:1
	v_lshlrev_b32_e32 v3, 3, v19
	v_add_nc_u32_e32 v19, 1, v19
	ds_load_b64 v[14:15], v3
	s_waitcnt lgkmcnt(1)
	v_sub_nc_u32_e32 v37, v18, v16
	v_mov_b32_e32 v3, v17
.LBB4_19:                               ;   in Loop: Header=BB4_9 Depth=1
	s_or_b32 exec_lo, exec_lo, s0
	v_add_nc_u32_e32 v16, 6, v18
	s_delay_alu instid0(VALU_DEP_3) | instskip(NEXT) | instid1(VALU_DEP_2)
	v_mov_b32_e32 v38, v37
	v_cmp_eq_u32_e32 vcc_lo, v16, v3
	s_waitcnt lgkmcnt(0)
	v_dual_mov_b32 v17, v15 :: v_dual_mov_b32 v16, v14
	s_and_saveexec_b32 s0, vcc_lo
	s_cbranch_execz .LBB4_21
; %bb.20:                               ;   in Loop: Header=BB4_9 Depth=1
	v_lshlrev_b32_e32 v3, 2, v19
	v_lshlrev_b32_e32 v16, 3, v19
	ds_load_b32 v3, v3 offset:18432
	ds_load_b64 v[16:17], v16
	s_waitcnt lgkmcnt(1)
	v_sub_nc_u32_e32 v38, v18, v3
.LBB4_21:                               ;   in Loop: Header=BB4_9 Depth=1
	s_or_b32 exec_lo, exec_lo, s0
	s_lshl_b64 s[0:1], s[8:9], 3
	s_min_u32 s5, s7, 0x700
	v_add_co_u32 v18, vcc_lo, v26, s0
	v_add_co_ci_u32_e32 v19, vcc_lo, s1, v27, vcc_lo
	v_cmp_gt_u32_e32 vcc_lo, s5, v1
	s_and_saveexec_b32 s0, vcc_lo
	s_cbranch_execnz .LBB4_36
; %bb.22:                               ;   in Loop: Header=BB4_9 Depth=1
	s_or_b32 exec_lo, exec_lo, s0
	v_cmp_gt_u32_e64 s0, s5, v21
	s_delay_alu instid0(VALU_DEP_1)
	s_and_saveexec_b32 s1, s0
	s_cbranch_execnz .LBB4_37
.LBB4_23:                               ;   in Loop: Header=BB4_9 Depth=1
	s_or_b32 exec_lo, exec_lo, s1
	v_cmp_gt_u32_e64 s1, s5, v22
	s_delay_alu instid0(VALU_DEP_1)
	s_and_saveexec_b32 s2, s1
	s_cbranch_execnz .LBB4_38
.LBB4_24:                               ;   in Loop: Header=BB4_9 Depth=1
	s_or_b32 exec_lo, exec_lo, s2
	v_cmp_gt_u32_e64 s2, s5, v23
	s_delay_alu instid0(VALU_DEP_1)
	s_and_saveexec_b32 s3, s2
	s_cbranch_execnz .LBB4_39
.LBB4_25:                               ;   in Loop: Header=BB4_9 Depth=1
	s_or_b32 exec_lo, exec_lo, s3
	v_cmp_gt_u32_e64 s3, s5, v24
	s_delay_alu instid0(VALU_DEP_1)
	s_and_saveexec_b32 s4, s3
	s_cbranch_execnz .LBB4_40
.LBB4_26:                               ;   in Loop: Header=BB4_9 Depth=1
	s_or_b32 exec_lo, exec_lo, s4
	v_cmp_gt_u32_e64 s4, s5, v25
	s_delay_alu instid0(VALU_DEP_1)
	s_and_saveexec_b32 s6, s4
	s_cbranch_execnz .LBB4_41
.LBB4_27:                               ;   in Loop: Header=BB4_9 Depth=1
	s_or_b32 exec_lo, exec_lo, s6
	v_cmp_gt_u32_e64 s5, s5, v28
	s_delay_alu instid0(VALU_DEP_1)
	s_and_saveexec_b32 s6, s5
	s_cbranch_execz .LBB4_29
.LBB4_28:                               ;   in Loop: Header=BB4_9 Depth=1
	s_waitcnt lgkmcnt(0)
	global_store_b64 v[18:19], v[16:17], off offset:48
.LBB4_29:                               ;   in Loop: Header=BB4_9 Depth=1
	s_or_b32 exec_lo, exec_lo, s6
	v_add_co_u32 v3, s6, v29, s8
	s_delay_alu instid0(VALU_DEP_1)
	v_add_co_ci_u32_e64 v4, s6, 0, v30, s6
	s_and_saveexec_b32 s6, vcc_lo
	s_cbranch_execnz .LBB4_42
; %bb.30:                               ;   in Loop: Header=BB4_9 Depth=1
	s_or_b32 exec_lo, exec_lo, s6
	s_and_saveexec_b32 s6, s0
	s_cbranch_execnz .LBB4_43
.LBB4_31:                               ;   in Loop: Header=BB4_9 Depth=1
	s_or_b32 exec_lo, exec_lo, s6
	s_and_saveexec_b32 s0, s1
	s_cbranch_execnz .LBB4_44
.LBB4_32:                               ;   in Loop: Header=BB4_9 Depth=1
	s_or_b32 exec_lo, exec_lo, s0
	s_and_saveexec_b32 s0, s2
	s_cbranch_execnz .LBB4_45
.LBB4_33:                               ;   in Loop: Header=BB4_9 Depth=1
	s_or_b32 exec_lo, exec_lo, s0
	s_and_saveexec_b32 s0, s3
	s_cbranch_execnz .LBB4_46
.LBB4_34:                               ;   in Loop: Header=BB4_9 Depth=1
	s_or_b32 exec_lo, exec_lo, s0
	s_and_saveexec_b32 s0, s4
	s_cbranch_execnz .LBB4_47
.LBB4_35:                               ;   in Loop: Header=BB4_9 Depth=1
	s_or_b32 exec_lo, exec_lo, s0
	s_and_saveexec_b32 s0, s5
	s_cbranch_execz .LBB4_8
	s_branch .LBB4_48
.LBB4_36:                               ;   in Loop: Header=BB4_9 Depth=1
	global_store_b64 v[18:19], v[4:5], off
	s_or_b32 exec_lo, exec_lo, s0
	v_cmp_gt_u32_e64 s0, s5, v21
	s_delay_alu instid0(VALU_DEP_1)
	s_and_saveexec_b32 s1, s0
	s_cbranch_execz .LBB4_23
.LBB4_37:                               ;   in Loop: Header=BB4_9 Depth=1
	global_store_b64 v[18:19], v[6:7], off offset:8
	s_or_b32 exec_lo, exec_lo, s1
	v_cmp_gt_u32_e64 s1, s5, v22
	s_delay_alu instid0(VALU_DEP_1)
	s_and_saveexec_b32 s2, s1
	s_cbranch_execz .LBB4_24
.LBB4_38:                               ;   in Loop: Header=BB4_9 Depth=1
	global_store_b64 v[18:19], v[8:9], off offset:16
	s_or_b32 exec_lo, exec_lo, s2
	v_cmp_gt_u32_e64 s2, s5, v23
	s_delay_alu instid0(VALU_DEP_1)
	s_and_saveexec_b32 s3, s2
	s_cbranch_execz .LBB4_25
.LBB4_39:                               ;   in Loop: Header=BB4_9 Depth=1
	global_store_b64 v[18:19], v[10:11], off offset:24
	s_or_b32 exec_lo, exec_lo, s3
	v_cmp_gt_u32_e64 s3, s5, v24
	s_delay_alu instid0(VALU_DEP_1)
	s_and_saveexec_b32 s4, s3
	s_cbranch_execz .LBB4_26
.LBB4_40:                               ;   in Loop: Header=BB4_9 Depth=1
	global_store_b64 v[18:19], v[12:13], off offset:32
	s_or_b32 exec_lo, exec_lo, s4
	v_cmp_gt_u32_e64 s4, s5, v25
	s_delay_alu instid0(VALU_DEP_1)
	s_and_saveexec_b32 s6, s4
	s_cbranch_execz .LBB4_27
.LBB4_41:                               ;   in Loop: Header=BB4_9 Depth=1
	global_store_b64 v[18:19], v[14:15], off offset:40
	s_or_b32 exec_lo, exec_lo, s6
	v_cmp_gt_u32_e64 s5, s5, v28
	s_delay_alu instid0(VALU_DEP_1)
	s_and_saveexec_b32 s6, s5
	s_cbranch_execnz .LBB4_28
	s_branch .LBB4_29
.LBB4_42:                               ;   in Loop: Header=BB4_9 Depth=1
	v_sub_nc_u32_e32 v2, v0, v2
	global_store_b8 v[3:4], v2, off
	s_or_b32 exec_lo, exec_lo, s6
	s_and_saveexec_b32 s6, s0
	s_cbranch_execz .LBB4_31
.LBB4_43:                               ;   in Loop: Header=BB4_9 Depth=1
	v_add_nc_u32_e32 v2, 1, v34
	global_store_b8 v[3:4], v2, off offset:1
	s_or_b32 exec_lo, exec_lo, s6
	s_and_saveexec_b32 s0, s1
	s_cbranch_execz .LBB4_32
.LBB4_44:                               ;   in Loop: Header=BB4_9 Depth=1
	v_add_nc_u32_e32 v2, 2, v33
	global_store_b8 v[3:4], v2, off offset:2
	s_or_b32 exec_lo, exec_lo, s0
	s_and_saveexec_b32 s0, s2
	s_cbranch_execz .LBB4_33
.LBB4_45:                               ;   in Loop: Header=BB4_9 Depth=1
	v_add_nc_u32_e32 v2, 3, v35
	global_store_b8 v[3:4], v2, off offset:3
	s_or_b32 exec_lo, exec_lo, s0
	s_and_saveexec_b32 s0, s3
	s_cbranch_execz .LBB4_34
.LBB4_46:                               ;   in Loop: Header=BB4_9 Depth=1
	v_add_nc_u32_e32 v2, 4, v36
	global_store_b8 v[3:4], v2, off offset:4
	s_or_b32 exec_lo, exec_lo, s0
	s_and_saveexec_b32 s0, s4
	s_cbranch_execz .LBB4_35
.LBB4_47:                               ;   in Loop: Header=BB4_9 Depth=1
	v_add_nc_u32_e32 v2, 5, v37
	global_store_b8 v[3:4], v2, off offset:5
	s_or_b32 exec_lo, exec_lo, s0
	s_and_saveexec_b32 s0, s5
	s_cbranch_execz .LBB4_8
.LBB4_48:                               ;   in Loop: Header=BB4_9 Depth=1
	v_add_nc_u32_e32 v2, 6, v38
	global_store_b8 v[3:4], v2, off offset:6
	s_branch .LBB4_8
.LBB4_49:
	s_nop 0
	s_sendmsg sendmsg(MSG_DEALLOC_VGPRS)
	s_endpgm
	.section	.rodata,"a",@progbits
	.p2align	6, 0x0
	.amdhsa_kernel _Z30block_run_length_decode_kernelIdcLj256ELj9ELj7EEvPKT_PKT0_PS0_PS3_
		.amdhsa_group_segment_fixed_size 27648
		.amdhsa_private_segment_fixed_size 0
		.amdhsa_kernarg_size 32
		.amdhsa_user_sgpr_count 15
		.amdhsa_user_sgpr_dispatch_ptr 0
		.amdhsa_user_sgpr_queue_ptr 0
		.amdhsa_user_sgpr_kernarg_segment_ptr 1
		.amdhsa_user_sgpr_dispatch_id 0
		.amdhsa_user_sgpr_private_segment_size 0
		.amdhsa_wavefront_size32 1
		.amdhsa_uses_dynamic_stack 0
		.amdhsa_enable_private_segment 0
		.amdhsa_system_sgpr_workgroup_id_x 1
		.amdhsa_system_sgpr_workgroup_id_y 0
		.amdhsa_system_sgpr_workgroup_id_z 0
		.amdhsa_system_sgpr_workgroup_info 0
		.amdhsa_system_vgpr_workitem_id 0
		.amdhsa_next_free_vgpr 39
		.amdhsa_next_free_sgpr 16
		.amdhsa_reserve_vcc 1
		.amdhsa_float_round_mode_32 0
		.amdhsa_float_round_mode_16_64 0
		.amdhsa_float_denorm_mode_32 3
		.amdhsa_float_denorm_mode_16_64 3
		.amdhsa_dx10_clamp 1
		.amdhsa_ieee_mode 1
		.amdhsa_fp16_overflow 0
		.amdhsa_workgroup_processor_mode 1
		.amdhsa_memory_ordered 1
		.amdhsa_forward_progress 0
		.amdhsa_shared_vgpr_count 0
		.amdhsa_exception_fp_ieee_invalid_op 0
		.amdhsa_exception_fp_denorm_src 0
		.amdhsa_exception_fp_ieee_div_zero 0
		.amdhsa_exception_fp_ieee_overflow 0
		.amdhsa_exception_fp_ieee_underflow 0
		.amdhsa_exception_fp_ieee_inexact 0
		.amdhsa_exception_int_div_zero 0
	.end_amdhsa_kernel
	.section	.text._Z30block_run_length_decode_kernelIdcLj256ELj9ELj7EEvPKT_PKT0_PS0_PS3_,"axG",@progbits,_Z30block_run_length_decode_kernelIdcLj256ELj9ELj7EEvPKT_PKT0_PS0_PS3_,comdat
.Lfunc_end4:
	.size	_Z30block_run_length_decode_kernelIdcLj256ELj9ELj7EEvPKT_PKT0_PS0_PS3_, .Lfunc_end4-_Z30block_run_length_decode_kernelIdcLj256ELj9ELj7EEvPKT_PKT0_PS0_PS3_
                                        ; -- End function
	.section	.AMDGPU.csdata,"",@progbits
; Kernel info:
; codeLenInByte = 3336
; NumSgprs: 18
; NumVgprs: 39
; ScratchSize: 0
; MemoryBound: 0
; FloatMode: 240
; IeeeMode: 1
; LDSByteSize: 27648 bytes/workgroup (compile time only)
; SGPRBlocks: 2
; VGPRBlocks: 4
; NumSGPRsForWavesPerEU: 18
; NumVGPRsForWavesPerEU: 39
; Occupancy: 8
; WaveLimiterHint : 0
; COMPUTE_PGM_RSRC2:SCRATCH_EN: 0
; COMPUTE_PGM_RSRC2:USER_SGPR: 15
; COMPUTE_PGM_RSRC2:TRAP_HANDLER: 0
; COMPUTE_PGM_RSRC2:TGID_X_EN: 1
; COMPUTE_PGM_RSRC2:TGID_Y_EN: 0
; COMPUTE_PGM_RSRC2:TGID_Z_EN: 0
; COMPUTE_PGM_RSRC2:TIDIG_COMP_CNT: 0
	.section	.text._Z30block_run_length_decode_kernelIiiLj256ELj9ELj7EEvPKT_PKT0_PS0_PS3_,"axG",@progbits,_Z30block_run_length_decode_kernelIiiLj256ELj9ELj7EEvPKT_PKT0_PS0_PS3_,comdat
	.protected	_Z30block_run_length_decode_kernelIiiLj256ELj9ELj7EEvPKT_PKT0_PS0_PS3_ ; -- Begin function _Z30block_run_length_decode_kernelIiiLj256ELj9ELj7EEvPKT_PKT0_PS0_PS3_
	.globl	_Z30block_run_length_decode_kernelIiiLj256ELj9ELj7EEvPKT_PKT0_PS0_PS3_
	.p2align	8
	.type	_Z30block_run_length_decode_kernelIiiLj256ELj9ELj7EEvPKT_PKT0_PS0_PS3_,@function
_Z30block_run_length_decode_kernelIiiLj256ELj9ELj7EEvPKT_PKT0_PS0_PS3_: ; @_Z30block_run_length_decode_kernelIiiLj256ELj9ELj7EEvPKT_PKT0_PS0_PS3_
; %bb.0:
	s_load_b256 s[0:7], s[0:1], 0x0
	v_lshl_or_b32 v17, s15, 8, v0
	v_mov_b32_e32 v2, 0
	v_or_b32_e32 v23, 31, v0
	s_delay_alu instid0(VALU_DEP_3) | instskip(NEXT) | instid1(VALU_DEP_1)
	v_lshl_add_u32 v1, v17, 3, v17
	v_lshlrev_b64 v[5:6], 2, v[1:2]
	s_waitcnt lgkmcnt(0)
	s_delay_alu instid0(VALU_DEP_1) | instskip(NEXT) | instid1(VALU_DEP_2)
	v_add_co_u32 v7, vcc_lo, s2, v5
	v_add_co_ci_u32_e32 v8, vcc_lo, s3, v6, vcc_lo
	v_add_co_u32 v9, vcc_lo, s0, v5
	v_add_co_ci_u32_e32 v10, vcc_lo, s1, v6, vcc_lo
	s_clause 0x2
	global_load_b128 v[13:16], v[7:8], off
	global_load_b128 v[1:4], v[7:8], off offset:16
	global_load_b32 v20, v[7:8], off offset:32
	s_mov_b32 s0, exec_lo
	s_clause 0x2
	global_load_b32 v18, v[9:10], off offset:32
	global_load_b128 v[5:8], v[9:10], off offset:16
	global_load_b128 v[9:12], v[9:10], off
	s_waitcnt vmcnt(5)
	v_add3_u32 v19, v14, v13, v15
	s_waitcnt vmcnt(4)
	s_delay_alu instid0(VALU_DEP_1) | instskip(NEXT) | instid1(VALU_DEP_1)
	v_add3_u32 v19, v19, v16, v1
	v_add3_u32 v21, v19, v2, v3
	v_mbcnt_lo_u32_b32 v19, -1, 0
	s_waitcnt vmcnt(3)
	s_delay_alu instid0(VALU_DEP_2) | instskip(NEXT) | instid1(VALU_DEP_2)
	v_add3_u32 v20, v21, v4, v20
	v_and_b32_e32 v21, 15, v19
	s_delay_alu instid0(VALU_DEP_2) | instskip(NEXT) | instid1(VALU_DEP_2)
	v_mov_b32_dpp v22, v20 row_shr:1 row_mask:0xf bank_mask:0xf
	v_cmp_ne_u32_e32 vcc_lo, 0, v21
	s_delay_alu instid0(VALU_DEP_2) | instskip(SKIP_1) | instid1(VALU_DEP_2)
	v_cndmask_b32_e32 v22, 0, v22, vcc_lo
	v_cmp_lt_u32_e32 vcc_lo, 1, v21
	v_add_nc_u32_e32 v20, v22, v20
	s_delay_alu instid0(VALU_DEP_1) | instskip(NEXT) | instid1(VALU_DEP_1)
	v_mov_b32_dpp v22, v20 row_shr:2 row_mask:0xf bank_mask:0xf
	v_cndmask_b32_e32 v22, 0, v22, vcc_lo
	v_cmp_lt_u32_e32 vcc_lo, 3, v21
	s_delay_alu instid0(VALU_DEP_2) | instskip(NEXT) | instid1(VALU_DEP_1)
	v_add_nc_u32_e32 v20, v20, v22
	v_mov_b32_dpp v22, v20 row_shr:4 row_mask:0xf bank_mask:0xf
	s_delay_alu instid0(VALU_DEP_1) | instskip(SKIP_1) | instid1(VALU_DEP_2)
	v_cndmask_b32_e32 v22, 0, v22, vcc_lo
	v_cmp_lt_u32_e32 vcc_lo, 7, v21
	v_add_nc_u32_e32 v20, v20, v22
	s_delay_alu instid0(VALU_DEP_1) | instskip(NEXT) | instid1(VALU_DEP_1)
	v_mov_b32_dpp v22, v20 row_shr:8 row_mask:0xf bank_mask:0xf
	v_cndmask_b32_e32 v21, 0, v22, vcc_lo
	v_bfe_i32 v22, v19, 4, 1
	s_delay_alu instid0(VALU_DEP_2) | instskip(SKIP_4) | instid1(VALU_DEP_2)
	v_add_nc_u32_e32 v20, v20, v21
	ds_swizzle_b32 v21, v20 offset:swizzle(BROADCAST,32,15)
	s_waitcnt lgkmcnt(0)
	v_and_b32_e32 v22, v22, v21
	v_lshrrev_b32_e32 v21, 5, v0
	v_add_nc_u32_e32 v20, v20, v22
	v_cmpx_eq_u32_e64 v23, v0
	s_cbranch_execz .LBB5_2
; %bb.1:
	s_delay_alu instid0(VALU_DEP_3)
	v_lshlrev_b32_e32 v22, 2, v21
	ds_store_b32 v22, v20
.LBB5_2:
	s_or_b32 exec_lo, exec_lo, s0
	s_delay_alu instid0(SALU_CYCLE_1)
	s_mov_b32 s0, exec_lo
	s_waitcnt vmcnt(0) lgkmcnt(0)
	s_barrier
	buffer_gl0_inv
	v_cmpx_gt_u32_e32 8, v0
	s_cbranch_execz .LBB5_4
; %bb.3:
	v_and_b32_e32 v24, 7, v19
	s_delay_alu instid0(VALU_DEP_1) | instskip(SKIP_4) | instid1(VALU_DEP_1)
	v_cmp_ne_u32_e32 vcc_lo, 0, v24
	v_lshlrev_b32_e32 v22, 2, v0
	ds_load_b32 v23, v22
	s_waitcnt lgkmcnt(0)
	v_mov_b32_dpp v25, v23 row_shr:1 row_mask:0xf bank_mask:0xf
	v_cndmask_b32_e32 v25, 0, v25, vcc_lo
	v_cmp_lt_u32_e32 vcc_lo, 1, v24
	s_delay_alu instid0(VALU_DEP_2) | instskip(NEXT) | instid1(VALU_DEP_1)
	v_add_nc_u32_e32 v23, v25, v23
	v_mov_b32_dpp v25, v23 row_shr:2 row_mask:0xf bank_mask:0xf
	s_delay_alu instid0(VALU_DEP_1) | instskip(SKIP_1) | instid1(VALU_DEP_2)
	v_cndmask_b32_e32 v25, 0, v25, vcc_lo
	v_cmp_lt_u32_e32 vcc_lo, 3, v24
	v_add_nc_u32_e32 v23, v23, v25
	s_delay_alu instid0(VALU_DEP_1) | instskip(NEXT) | instid1(VALU_DEP_1)
	v_mov_b32_dpp v25, v23 row_shr:4 row_mask:0xf bank_mask:0xf
	v_cndmask_b32_e32 v24, 0, v25, vcc_lo
	s_delay_alu instid0(VALU_DEP_1)
	v_add_nc_u32_e32 v23, v23, v24
	ds_store_b32 v22, v23
.LBB5_4:
	s_or_b32 exec_lo, exec_lo, s0
	v_dual_mov_b32 v22, 0 :: v_dual_mov_b32 v23, 0
	s_mov_b32 s0, exec_lo
	s_waitcnt lgkmcnt(0)
	s_barrier
	buffer_gl0_inv
	v_cmpx_lt_u32_e32 31, v0
	s_cbranch_execz .LBB5_6
; %bb.5:
	v_lshl_add_u32 v21, v21, 2, -4
	ds_load_b32 v23, v21
.LBB5_6:
	s_or_b32 exec_lo, exec_lo, s0
	v_add_nc_u32_e32 v21, -1, v19
	s_mov_b32 s9, 0
	s_waitcnt lgkmcnt(0)
	v_add_nc_u32_e32 v20, v23, v20
	s_delay_alu instid0(VALU_DEP_2) | instskip(SKIP_2) | instid1(VALU_DEP_2)
	v_cmp_gt_i32_e32 vcc_lo, 0, v21
	v_cndmask_b32_e32 v21, v21, v19, vcc_lo
	v_cmp_eq_u32_e32 vcc_lo, 0, v19
	v_lshlrev_b32_e32 v21, 2, v21
	ds_bpermute_b32 v20, v21, v20
	v_mul_u32_u24_e32 v21, 9, v0
	s_delay_alu instid0(VALU_DEP_1) | instskip(NEXT) | instid1(VALU_DEP_1)
	v_lshlrev_b32_e32 v21, 2, v21
	v_add_nc_u32_e32 v24, 0x2410, v21
	v_add_nc_u32_e32 v25, 0x2418, v21
	s_waitcnt lgkmcnt(0)
	v_cndmask_b32_e32 v19, v20, v23, vcc_lo
	v_cmp_ne_u32_e32 vcc_lo, 0, v0
	ds_load_b32 v20, v22 offset:28
	v_add_nc_u32_e32 v22, 0x2400, v21
	v_add_nc_u32_e32 v23, 0x2408, v21
	s_waitcnt lgkmcnt(0)
	v_cndmask_b32_e32 v19, 0, v19, vcc_lo
	s_barrier
	buffer_gl0_inv
	ds_store_2addr_b32 v21, v9, v10 offset1:1
	ds_store_2addr_b32 v21, v11, v12 offset0:2 offset1:3
	ds_store_2addr_b32 v21, v5, v6 offset0:4 offset1:5
	;; [unrolled: 1-line block ×3, first 2 shown]
	v_add_nc_u32_e32 v5, 32, v21
	v_add_nc_u32_e32 v13, v19, v13
	s_delay_alu instid0(VALU_DEP_1) | instskip(NEXT) | instid1(VALU_DEP_1)
	v_add_nc_u32_e32 v14, v13, v14
	v_add_nc_u32_e32 v15, v14, v15
	v_cmp_eq_u32_e32 vcc_lo, 0, v20
	v_readfirstlane_b32 s10, v20
	s_delay_alu instid0(VALU_DEP_3) | instskip(SKIP_1) | instid1(VALU_DEP_1)
	v_add_nc_u32_e32 v16, v15, v16
	s_and_b32 vcc_lo, exec_lo, vcc_lo
	v_add_nc_u32_e32 v1, v16, v1
	s_delay_alu instid0(VALU_DEP_1) | instskip(NEXT) | instid1(VALU_DEP_1)
	v_add_nc_u32_e32 v2, v1, v2
	v_add_nc_u32_e32 v3, v2, v3
	s_delay_alu instid0(VALU_DEP_1)
	v_add_nc_u32_e32 v4, v3, v4
	ds_store_2addr_b32 v22, v19, v13 offset1:1
	ds_store_2addr_b32 v23, v14, v15 offset1:1
	;; [unrolled: 1-line block ×4, first 2 shown]
	ds_store_2addr_stride64_b32 v5, v18, v4 offset1:36
	s_waitcnt lgkmcnt(0)
	s_barrier
	buffer_gl0_inv
	s_cbranch_vccnz .LBB5_49
; %bb.7:
	v_mul_lo_u32 v1, v17, 7
	v_mov_b32_e32 v2, 0
	v_mul_u32_u24_e32 v0, 7, v0
	s_mov_b32 s11, s10
	s_mov_b32 s8, s9
	v_mov_b32_e32 v16, 0x480
	v_mov_b32_e32 v17, 0x240
	v_add_nc_u32_e32 v7, 2, v1
	ds_load_b32 v5, v2 offset:13824
	v_lshlrev_b64 v[2:3], 2, v[1:2]
	v_add_nc_u32_e32 v6, 1, v1
	v_add_nc_u32_e32 v8, 3, v1
	;; [unrolled: 1-line block ×5, first 2 shown]
	v_add_co_u32 v11, vcc_lo, s4, v2
	v_add_co_ci_u32_e32 v12, vcc_lo, s5, v3, vcc_lo
	v_add_co_u32 v14, vcc_lo, s6, v2
	v_add_co_ci_u32_e32 v15, vcc_lo, s7, v3, vcc_lo
	s_branch .LBB5_9
.LBB5_8:                                ;   in Loop: Header=BB5_9 Depth=1
	s_or_b32 exec_lo, exec_lo, s0
	s_addk_i32 s8, 0x700
	s_addk_i32 s11, 0xf900
	s_cmp_lt_u32 s8, s10
	s_cbranch_scc0 .LBB5_49
.LBB5_9:                                ; =>This Inner Loop Header: Depth=1
	v_add_nc_u32_e32 v4, s8, v0
	s_waitcnt lgkmcnt(0)
	s_delay_alu instid0(VALU_DEP_1) | instskip(SKIP_2) | instid1(VALU_DEP_2)
	v_cmp_gt_u32_e32 vcc_lo, v5, v4
	v_cndmask_b32_e32 v3, 0x6c0, v17, vcc_lo
	v_cndmask_b32_e64 v2, 0x481, 0, vcc_lo
	v_dual_cndmask_b32 v19, 0x900, v16 :: v_dual_lshlrev_b32 v18, 2, v3
	v_or_b32_e32 v20, 1, v3
	ds_load_b32 v18, v18 offset:9216
	s_waitcnt lgkmcnt(0)
	v_cmp_gt_u32_e32 vcc_lo, v18, v4
	v_dual_cndmask_b32 v2, v20, v2 :: v_dual_cndmask_b32 v3, v19, v3
	s_delay_alu instid0(VALU_DEP_1) | instskip(NEXT) | instid1(VALU_DEP_1)
	v_sub_nc_u32_e32 v18, v3, v2
	v_lshrrev_b16 v19, 15, v18
	s_delay_alu instid0(VALU_DEP_1) | instskip(NEXT) | instid1(VALU_DEP_1)
	v_add_nc_u16 v18, v18, v19
	v_ashrrev_i16 v18, 1, v18
	s_delay_alu instid0(VALU_DEP_1) | instskip(NEXT) | instid1(VALU_DEP_1)
	v_bfe_i32 v18, v18, 0, 16
	v_add_nc_u32_e32 v18, v2, v18
	s_delay_alu instid0(VALU_DEP_1) | instskip(NEXT) | instid1(VALU_DEP_1)
	v_min_i32_e32 v18, 0x8ff, v18
	v_lshlrev_b32_e32 v19, 2, v18
	v_add_nc_u32_e32 v20, 1, v18
	ds_load_b32 v19, v19 offset:9216
	s_waitcnt lgkmcnt(0)
	v_cmp_gt_u32_e32 vcc_lo, v19, v4
	v_cndmask_b32_e32 v2, v20, v2, vcc_lo
	v_cndmask_b32_e32 v3, v3, v18, vcc_lo
	s_delay_alu instid0(VALU_DEP_1) | instskip(NEXT) | instid1(VALU_DEP_1)
	v_sub_nc_u32_e32 v18, v3, v2
	v_lshrrev_b16 v19, 15, v18
	s_delay_alu instid0(VALU_DEP_1) | instskip(NEXT) | instid1(VALU_DEP_1)
	v_add_nc_u16 v18, v18, v19
	v_ashrrev_i16 v18, 1, v18
	s_delay_alu instid0(VALU_DEP_1) | instskip(NEXT) | instid1(VALU_DEP_1)
	v_bfe_i32 v18, v18, 0, 16
	v_add_nc_u32_e32 v18, v2, v18
	s_delay_alu instid0(VALU_DEP_1) | instskip(NEXT) | instid1(VALU_DEP_1)
	v_min_i32_e32 v18, 0x8ff, v18
	v_lshlrev_b32_e32 v19, 2, v18
	v_add_nc_u32_e32 v20, 1, v18
	ds_load_b32 v19, v19 offset:9216
	s_waitcnt lgkmcnt(0)
	v_cmp_gt_u32_e32 vcc_lo, v19, v4
	v_cndmask_b32_e32 v2, v20, v2, vcc_lo
	v_cndmask_b32_e32 v3, v3, v18, vcc_lo
	;; [unrolled: 18-line block ×7, first 2 shown]
	s_delay_alu instid0(VALU_DEP_1) | instskip(NEXT) | instid1(VALU_DEP_1)
	v_sub_nc_u32_e32 v18, v3, v2
	v_lshrrev_b32_e32 v19, 31, v18
	s_delay_alu instid0(VALU_DEP_1) | instskip(NEXT) | instid1(VALU_DEP_1)
	v_add_nc_u32_e32 v18, v18, v19
	v_ashrrev_i32_e32 v18, 1, v18
	s_delay_alu instid0(VALU_DEP_1) | instskip(NEXT) | instid1(VALU_DEP_1)
	v_add_nc_u32_e32 v18, v18, v2
	v_min_i32_e32 v18, 0x8ff, v18
	s_delay_alu instid0(VALU_DEP_1)
	v_lshlrev_b32_e32 v19, 2, v18
	v_add_nc_u32_e32 v20, 1, v18
	ds_load_b32 v19, v19 offset:9216
	s_waitcnt lgkmcnt(0)
	v_cmp_gt_u32_e32 vcc_lo, v19, v4
	v_cndmask_b32_e32 v2, v20, v2, vcc_lo
	v_cndmask_b32_e32 v3, v3, v18, vcc_lo
	s_delay_alu instid0(VALU_DEP_1) | instskip(NEXT) | instid1(VALU_DEP_1)
	v_sub_nc_u32_e32 v18, v3, v2
	v_lshrrev_b32_e32 v19, 31, v18
	s_delay_alu instid0(VALU_DEP_1) | instskip(NEXT) | instid1(VALU_DEP_1)
	v_add_nc_u32_e32 v18, v18, v19
	v_ashrrev_i32_e32 v18, 1, v18
	s_delay_alu instid0(VALU_DEP_1) | instskip(NEXT) | instid1(VALU_DEP_1)
	v_add_nc_u32_e32 v18, v18, v2
	v_min_i32_e32 v18, 0x8ff, v18
	s_delay_alu instid0(VALU_DEP_1)
	v_lshlrev_b32_e32 v19, 2, v18
	v_add_nc_u32_e32 v20, 1, v18
	ds_load_b32 v19, v19 offset:9216
	s_waitcnt lgkmcnt(0)
	v_cmp_gt_u32_e32 vcc_lo, v19, v4
	v_cndmask_b32_e32 v2, v20, v2, vcc_lo
	v_cndmask_b32_e32 v3, v3, v18, vcc_lo
	;; [unrolled: 17-line block ×3, first 2 shown]
	s_delay_alu instid0(VALU_DEP_1) | instskip(NEXT) | instid1(VALU_DEP_1)
	v_sub_nc_u32_e32 v3, v3, v2
	v_lshrrev_b32_e32 v18, 31, v3
	s_delay_alu instid0(VALU_DEP_1) | instskip(NEXT) | instid1(VALU_DEP_1)
	v_add_nc_u32_e32 v3, v3, v18
	v_ashrrev_i32_e32 v3, 1, v3
	s_delay_alu instid0(VALU_DEP_1) | instskip(NEXT) | instid1(VALU_DEP_1)
	v_add_nc_u32_e32 v3, v3, v2
	v_min_i32_e32 v3, 0x8ff, v3
	s_delay_alu instid0(VALU_DEP_1)
	v_lshlrev_b32_e32 v18, 2, v3
	v_add_nc_u32_e32 v3, 1, v3
	ds_load_b32 v18, v18 offset:9216
	s_waitcnt lgkmcnt(0)
	v_cmp_gt_u32_e32 vcc_lo, v18, v4
	v_cndmask_b32_e32 v26, v3, v2, vcc_lo
	s_delay_alu instid0(VALU_DEP_1) | instskip(NEXT) | instid1(VALU_DEP_1)
	v_lshlrev_b32_e32 v20, 2, v26
	v_add_nc_u32_e32 v2, 0x23fc, v20
	v_add_nc_u32_e32 v18, -4, v20
	ds_load_2addr_b32 v[2:3], v2 offset1:1
	ds_load_b32 v23, v18
	v_add_nc_u32_e32 v18, 1, v4
	s_waitcnt lgkmcnt(1)
	v_sub_nc_u32_e32 v19, v4, v2
	s_delay_alu instid0(VALU_DEP_2) | instskip(SKIP_2) | instid1(VALU_DEP_3)
	v_cmp_eq_u32_e32 vcc_lo, v18, v3
	s_waitcnt lgkmcnt(0)
	v_mov_b32_e32 v24, v23
	v_mov_b32_e32 v18, v19
	s_and_saveexec_b32 s0, vcc_lo
	s_cbranch_execz .LBB5_11
; %bb.10:                               ;   in Loop: Header=BB5_9 Depth=1
	ds_load_b32 v2, v20 offset:9220
	ds_load_b32 v24, v20
	v_add_nc_u32_e32 v26, 1, v26
	v_sub_nc_u32_e32 v18, v4, v3
	s_waitcnt lgkmcnt(1)
	v_mov_b32_e32 v3, v2
.LBB5_11:                               ;   in Loop: Header=BB5_9 Depth=1
	s_or_b32 exec_lo, exec_lo, s0
	s_waitcnt lgkmcnt(0)
	v_dual_mov_b32 v27, v24 :: v_dual_add_nc_u32 v2, 2, v4
	v_mov_b32_e32 v20, v18
	s_mov_b32 s0, exec_lo
	s_delay_alu instid0(VALU_DEP_2)
	v_cmpx_eq_u32_e64 v2, v3
	s_cbranch_execz .LBB5_13
; %bb.12:                               ;   in Loop: Header=BB5_9 Depth=1
	v_lshlrev_b32_e32 v2, 2, v26
	v_add_nc_u32_e32 v26, 1, v26
	v_sub_nc_u32_e32 v20, v4, v3
	ds_load_b32 v21, v2 offset:9220
	ds_load_b32 v27, v2
	s_waitcnt lgkmcnt(1)
	v_mov_b32_e32 v3, v21
.LBB5_13:                               ;   in Loop: Header=BB5_9 Depth=1
	s_or_b32 exec_lo, exec_lo, s0
	v_dual_mov_b32 v21, v20 :: v_dual_add_nc_u32 v2, 3, v4
	s_waitcnt lgkmcnt(0)
	v_mov_b32_e32 v29, v27
	s_mov_b32 s0, exec_lo
	s_delay_alu instid0(VALU_DEP_2)
	v_cmpx_eq_u32_e64 v2, v3
	s_cbranch_execz .LBB5_15
; %bb.14:                               ;   in Loop: Header=BB5_9 Depth=1
	v_lshlrev_b32_e32 v21, 2, v26
	v_add_nc_u32_e32 v26, 1, v26
	s_delay_alu instid0(VALU_DEP_2)
	v_add_nc_u32_e32 v2, 0x2400, v21
	ds_load_2addr_b32 v[2:3], v2 offset1:1
	ds_load_b32 v29, v21
	s_waitcnt lgkmcnt(1)
	v_sub_nc_u32_e32 v21, v4, v2
.LBB5_15:                               ;   in Loop: Header=BB5_9 Depth=1
	s_or_b32 exec_lo, exec_lo, s0
	v_add_nc_u32_e32 v2, 4, v4
	s_delay_alu instid0(VALU_DEP_2)
	v_mov_b32_e32 v22, v21
	s_waitcnt lgkmcnt(0)
	v_mov_b32_e32 v30, v29
	s_mov_b32 s0, exec_lo
	v_cmpx_eq_u32_e64 v2, v3
	s_cbranch_execz .LBB5_17
; %bb.16:                               ;   in Loop: Header=BB5_9 Depth=1
	v_lshlrev_b32_e32 v22, 2, v26
	v_add_nc_u32_e32 v26, 1, v26
	s_delay_alu instid0(VALU_DEP_2)
	v_add_nc_u32_e32 v2, 0x2400, v22
	ds_load_2addr_b32 v[2:3], v2 offset1:1
	ds_load_b32 v30, v22
	s_waitcnt lgkmcnt(1)
	v_sub_nc_u32_e32 v22, v4, v2
.LBB5_17:                               ;   in Loop: Header=BB5_9 Depth=1
	s_or_b32 exec_lo, exec_lo, s0
	s_delay_alu instid0(VALU_DEP_1) | instskip(SKIP_3) | instid1(VALU_DEP_2)
	v_dual_mov_b32 v25, v22 :: v_dual_add_nc_u32 v2, 5, v4
	s_waitcnt lgkmcnt(0)
	v_mov_b32_e32 v31, v30
	s_mov_b32 s0, exec_lo
	v_cmpx_eq_u32_e64 v2, v3
	s_cbranch_execz .LBB5_19
; %bb.18:                               ;   in Loop: Header=BB5_9 Depth=1
	v_lshlrev_b32_e32 v25, 2, v26
	v_add_nc_u32_e32 v26, 1, v26
	s_delay_alu instid0(VALU_DEP_2)
	v_add_nc_u32_e32 v2, 0x2400, v25
	ds_load_2addr_b32 v[2:3], v2 offset1:1
	ds_load_b32 v31, v25
	s_waitcnt lgkmcnt(1)
	v_sub_nc_u32_e32 v25, v4, v2
.LBB5_19:                               ;   in Loop: Header=BB5_9 Depth=1
	s_or_b32 exec_lo, exec_lo, s0
	v_add_nc_u32_e32 v2, 6, v4
	s_delay_alu instid0(VALU_DEP_2) | instskip(NEXT) | instid1(VALU_DEP_2)
	v_mov_b32_e32 v28, v25
	v_cmp_eq_u32_e32 vcc_lo, v2, v3
	s_waitcnt lgkmcnt(0)
	v_mov_b32_e32 v2, v31
	s_and_saveexec_b32 s0, vcc_lo
	s_cbranch_execz .LBB5_21
; %bb.20:                               ;   in Loop: Header=BB5_9 Depth=1
	v_lshlrev_b32_e32 v2, 2, v26
	ds_load_2addr_stride64_b32 v[2:3], v2 offset1:36
	s_waitcnt lgkmcnt(0)
	v_sub_nc_u32_e32 v28, v4, v3
.LBB5_21:                               ;   in Loop: Header=BB5_9 Depth=1
	s_or_b32 exec_lo, exec_lo, s0
	s_lshl_b64 s[6:7], s[8:9], 2
	s_min_u32 s5, s11, 0x700
	v_add_co_u32 v3, vcc_lo, v11, s6
	v_add_co_ci_u32_e32 v4, vcc_lo, s7, v12, vcc_lo
	v_cmp_gt_u32_e32 vcc_lo, s5, v1
	s_and_saveexec_b32 s0, vcc_lo
	s_cbranch_execnz .LBB5_36
; %bb.22:                               ;   in Loop: Header=BB5_9 Depth=1
	s_or_b32 exec_lo, exec_lo, s0
	v_cmp_gt_u32_e64 s0, s5, v6
	s_delay_alu instid0(VALU_DEP_1)
	s_and_saveexec_b32 s1, s0
	s_cbranch_execnz .LBB5_37
.LBB5_23:                               ;   in Loop: Header=BB5_9 Depth=1
	s_or_b32 exec_lo, exec_lo, s1
	v_cmp_gt_u32_e64 s1, s5, v7
	s_delay_alu instid0(VALU_DEP_1)
	s_and_saveexec_b32 s2, s1
	s_cbranch_execnz .LBB5_38
.LBB5_24:                               ;   in Loop: Header=BB5_9 Depth=1
	s_or_b32 exec_lo, exec_lo, s2
	v_cmp_gt_u32_e64 s2, s5, v8
	s_delay_alu instid0(VALU_DEP_1)
	s_and_saveexec_b32 s3, s2
	s_cbranch_execnz .LBB5_39
.LBB5_25:                               ;   in Loop: Header=BB5_9 Depth=1
	s_or_b32 exec_lo, exec_lo, s3
	v_cmp_gt_u32_e64 s3, s5, v9
	s_delay_alu instid0(VALU_DEP_1)
	s_and_saveexec_b32 s4, s3
	s_cbranch_execnz .LBB5_40
.LBB5_26:                               ;   in Loop: Header=BB5_9 Depth=1
	s_or_b32 exec_lo, exec_lo, s4
	v_cmp_gt_u32_e64 s4, s5, v10
	s_delay_alu instid0(VALU_DEP_1)
	s_and_saveexec_b32 s12, s4
	s_cbranch_execnz .LBB5_41
.LBB5_27:                               ;   in Loop: Header=BB5_9 Depth=1
	s_or_b32 exec_lo, exec_lo, s12
	v_cmp_gt_u32_e64 s5, s5, v13
	s_delay_alu instid0(VALU_DEP_1)
	s_and_saveexec_b32 s12, s5
	s_cbranch_execz .LBB5_29
.LBB5_28:                               ;   in Loop: Header=BB5_9 Depth=1
	global_store_b32 v[3:4], v2, off offset:24
.LBB5_29:                               ;   in Loop: Header=BB5_9 Depth=1
	s_or_b32 exec_lo, exec_lo, s12
	v_add_co_u32 v2, s6, v14, s6
	s_delay_alu instid0(VALU_DEP_1)
	v_add_co_ci_u32_e64 v3, s6, s7, v15, s6
	s_and_saveexec_b32 s6, vcc_lo
	s_cbranch_execnz .LBB5_42
; %bb.30:                               ;   in Loop: Header=BB5_9 Depth=1
	s_or_b32 exec_lo, exec_lo, s6
	s_and_saveexec_b32 s6, s0
	s_cbranch_execnz .LBB5_43
.LBB5_31:                               ;   in Loop: Header=BB5_9 Depth=1
	s_or_b32 exec_lo, exec_lo, s6
	s_and_saveexec_b32 s0, s1
	s_cbranch_execnz .LBB5_44
.LBB5_32:                               ;   in Loop: Header=BB5_9 Depth=1
	s_or_b32 exec_lo, exec_lo, s0
	s_and_saveexec_b32 s0, s2
	s_cbranch_execnz .LBB5_45
.LBB5_33:                               ;   in Loop: Header=BB5_9 Depth=1
	s_or_b32 exec_lo, exec_lo, s0
	s_and_saveexec_b32 s0, s3
	s_cbranch_execnz .LBB5_46
.LBB5_34:                               ;   in Loop: Header=BB5_9 Depth=1
	s_or_b32 exec_lo, exec_lo, s0
	s_and_saveexec_b32 s0, s4
	s_cbranch_execnz .LBB5_47
.LBB5_35:                               ;   in Loop: Header=BB5_9 Depth=1
	s_or_b32 exec_lo, exec_lo, s0
	s_and_saveexec_b32 s0, s5
	s_cbranch_execz .LBB5_8
	s_branch .LBB5_48
.LBB5_36:                               ;   in Loop: Header=BB5_9 Depth=1
	global_store_b32 v[3:4], v23, off
	s_or_b32 exec_lo, exec_lo, s0
	v_cmp_gt_u32_e64 s0, s5, v6
	s_delay_alu instid0(VALU_DEP_1)
	s_and_saveexec_b32 s1, s0
	s_cbranch_execz .LBB5_23
.LBB5_37:                               ;   in Loop: Header=BB5_9 Depth=1
	global_store_b32 v[3:4], v24, off offset:4
	s_or_b32 exec_lo, exec_lo, s1
	v_cmp_gt_u32_e64 s1, s5, v7
	s_delay_alu instid0(VALU_DEP_1)
	s_and_saveexec_b32 s2, s1
	s_cbranch_execz .LBB5_24
.LBB5_38:                               ;   in Loop: Header=BB5_9 Depth=1
	global_store_b32 v[3:4], v27, off offset:8
	s_or_b32 exec_lo, exec_lo, s2
	v_cmp_gt_u32_e64 s2, s5, v8
	s_delay_alu instid0(VALU_DEP_1)
	s_and_saveexec_b32 s3, s2
	s_cbranch_execz .LBB5_25
.LBB5_39:                               ;   in Loop: Header=BB5_9 Depth=1
	global_store_b32 v[3:4], v29, off offset:12
	s_or_b32 exec_lo, exec_lo, s3
	v_cmp_gt_u32_e64 s3, s5, v9
	s_delay_alu instid0(VALU_DEP_1)
	s_and_saveexec_b32 s4, s3
	s_cbranch_execz .LBB5_26
.LBB5_40:                               ;   in Loop: Header=BB5_9 Depth=1
	global_store_b32 v[3:4], v30, off offset:16
	s_or_b32 exec_lo, exec_lo, s4
	v_cmp_gt_u32_e64 s4, s5, v10
	s_delay_alu instid0(VALU_DEP_1)
	s_and_saveexec_b32 s12, s4
	s_cbranch_execz .LBB5_27
.LBB5_41:                               ;   in Loop: Header=BB5_9 Depth=1
	global_store_b32 v[3:4], v31, off offset:20
	s_or_b32 exec_lo, exec_lo, s12
	v_cmp_gt_u32_e64 s5, s5, v13
	s_delay_alu instid0(VALU_DEP_1)
	s_and_saveexec_b32 s12, s5
	s_cbranch_execnz .LBB5_28
	s_branch .LBB5_29
.LBB5_42:                               ;   in Loop: Header=BB5_9 Depth=1
	global_store_b32 v[2:3], v19, off
	s_or_b32 exec_lo, exec_lo, s6
	s_and_saveexec_b32 s6, s0
	s_cbranch_execz .LBB5_31
.LBB5_43:                               ;   in Loop: Header=BB5_9 Depth=1
	v_add_nc_u32_e32 v4, 1, v18
	global_store_b32 v[2:3], v4, off offset:4
	s_or_b32 exec_lo, exec_lo, s6
	s_and_saveexec_b32 s0, s1
	s_cbranch_execz .LBB5_32
.LBB5_44:                               ;   in Loop: Header=BB5_9 Depth=1
	v_add_nc_u32_e32 v4, 2, v20
	global_store_b32 v[2:3], v4, off offset:8
	s_or_b32 exec_lo, exec_lo, s0
	s_and_saveexec_b32 s0, s2
	s_cbranch_execz .LBB5_33
.LBB5_45:                               ;   in Loop: Header=BB5_9 Depth=1
	v_add_nc_u32_e32 v4, 3, v21
	global_store_b32 v[2:3], v4, off offset:12
	s_or_b32 exec_lo, exec_lo, s0
	s_and_saveexec_b32 s0, s3
	s_cbranch_execz .LBB5_34
.LBB5_46:                               ;   in Loop: Header=BB5_9 Depth=1
	v_add_nc_u32_e32 v4, 4, v22
	global_store_b32 v[2:3], v4, off offset:16
	s_or_b32 exec_lo, exec_lo, s0
	s_and_saveexec_b32 s0, s4
	s_cbranch_execz .LBB5_35
.LBB5_47:                               ;   in Loop: Header=BB5_9 Depth=1
	v_add_nc_u32_e32 v4, 5, v25
	global_store_b32 v[2:3], v4, off offset:20
	s_or_b32 exec_lo, exec_lo, s0
	s_and_saveexec_b32 s0, s5
	s_cbranch_execz .LBB5_8
.LBB5_48:                               ;   in Loop: Header=BB5_9 Depth=1
	v_add_nc_u32_e32 v4, 6, v28
	global_store_b32 v[2:3], v4, off offset:24
	s_branch .LBB5_8
.LBB5_49:
	s_nop 0
	s_sendmsg sendmsg(MSG_DEALLOC_VGPRS)
	s_endpgm
	.section	.rodata,"a",@progbits
	.p2align	6, 0x0
	.amdhsa_kernel _Z30block_run_length_decode_kernelIiiLj256ELj9ELj7EEvPKT_PKT0_PS0_PS3_
		.amdhsa_group_segment_fixed_size 18432
		.amdhsa_private_segment_fixed_size 0
		.amdhsa_kernarg_size 32
		.amdhsa_user_sgpr_count 15
		.amdhsa_user_sgpr_dispatch_ptr 0
		.amdhsa_user_sgpr_queue_ptr 0
		.amdhsa_user_sgpr_kernarg_segment_ptr 1
		.amdhsa_user_sgpr_dispatch_id 0
		.amdhsa_user_sgpr_private_segment_size 0
		.amdhsa_wavefront_size32 1
		.amdhsa_uses_dynamic_stack 0
		.amdhsa_enable_private_segment 0
		.amdhsa_system_sgpr_workgroup_id_x 1
		.amdhsa_system_sgpr_workgroup_id_y 0
		.amdhsa_system_sgpr_workgroup_id_z 0
		.amdhsa_system_sgpr_workgroup_info 0
		.amdhsa_system_vgpr_workitem_id 0
		.amdhsa_next_free_vgpr 32
		.amdhsa_next_free_sgpr 16
		.amdhsa_reserve_vcc 1
		.amdhsa_float_round_mode_32 0
		.amdhsa_float_round_mode_16_64 0
		.amdhsa_float_denorm_mode_32 3
		.amdhsa_float_denorm_mode_16_64 3
		.amdhsa_dx10_clamp 1
		.amdhsa_ieee_mode 1
		.amdhsa_fp16_overflow 0
		.amdhsa_workgroup_processor_mode 1
		.amdhsa_memory_ordered 1
		.amdhsa_forward_progress 0
		.amdhsa_shared_vgpr_count 0
		.amdhsa_exception_fp_ieee_invalid_op 0
		.amdhsa_exception_fp_denorm_src 0
		.amdhsa_exception_fp_ieee_div_zero 0
		.amdhsa_exception_fp_ieee_overflow 0
		.amdhsa_exception_fp_ieee_underflow 0
		.amdhsa_exception_fp_ieee_inexact 0
		.amdhsa_exception_int_div_zero 0
	.end_amdhsa_kernel
	.section	.text._Z30block_run_length_decode_kernelIiiLj256ELj9ELj7EEvPKT_PKT0_PS0_PS3_,"axG",@progbits,_Z30block_run_length_decode_kernelIiiLj256ELj9ELj7EEvPKT_PKT0_PS0_PS3_,comdat
.Lfunc_end5:
	.size	_Z30block_run_length_decode_kernelIiiLj256ELj9ELj7EEvPKT_PKT0_PS0_PS3_, .Lfunc_end5-_Z30block_run_length_decode_kernelIiiLj256ELj9ELj7EEvPKT_PKT0_PS0_PS3_
                                        ; -- End function
	.section	.AMDGPU.csdata,"",@progbits
; Kernel info:
; codeLenInByte = 3188
; NumSgprs: 18
; NumVgprs: 32
; ScratchSize: 0
; MemoryBound: 0
; FloatMode: 240
; IeeeMode: 1
; LDSByteSize: 18432 bytes/workgroup (compile time only)
; SGPRBlocks: 2
; VGPRBlocks: 3
; NumSGPRsForWavesPerEU: 18
; NumVGPRsForWavesPerEU: 32
; Occupancy: 14
; WaveLimiterHint : 0
; COMPUTE_PGM_RSRC2:SCRATCH_EN: 0
; COMPUTE_PGM_RSRC2:USER_SGPR: 15
; COMPUTE_PGM_RSRC2:TRAP_HANDLER: 0
; COMPUTE_PGM_RSRC2:TGID_X_EN: 1
; COMPUTE_PGM_RSRC2:TGID_Y_EN: 0
; COMPUTE_PGM_RSRC2:TGID_Z_EN: 0
; COMPUTE_PGM_RSRC2:TIDIG_COMP_CNT: 0
	.section	.text._Z30block_run_length_decode_kernelI12hip_bfloat16iLj256ELj1ELj14EEvPKT_PKT0_PS1_PS4_,"axG",@progbits,_Z30block_run_length_decode_kernelI12hip_bfloat16iLj256ELj1ELj14EEvPKT_PKT0_PS1_PS4_,comdat
	.protected	_Z30block_run_length_decode_kernelI12hip_bfloat16iLj256ELj1ELj14EEvPKT_PKT0_PS1_PS4_ ; -- Begin function _Z30block_run_length_decode_kernelI12hip_bfloat16iLj256ELj1ELj14EEvPKT_PKT0_PS1_PS4_
	.globl	_Z30block_run_length_decode_kernelI12hip_bfloat16iLj256ELj1ELj14EEvPKT_PKT0_PS1_PS4_
	.p2align	8
	.type	_Z30block_run_length_decode_kernelI12hip_bfloat16iLj256ELj1ELj14EEvPKT_PKT0_PS1_PS4_,@function
_Z30block_run_length_decode_kernelI12hip_bfloat16iLj256ELj1ELj14EEvPKT_PKT0_PS1_PS4_: ; @_Z30block_run_length_decode_kernelI12hip_bfloat16iLj256ELj1ELj14EEvPKT_PKT0_PS1_PS4_
; %bb.0:
	s_load_b256 s[0:7], s[0:1], 0x0
	v_mov_b32_e32 v2, 0
	v_lshl_or_b32 v1, s15, 8, v0
	v_or_b32_e32 v7, 31, v0
	s_delay_alu instid0(VALU_DEP_2) | instskip(SKIP_1) | instid1(VALU_DEP_1)
	v_lshlrev_b64 v[3:4], 2, v[1:2]
	s_waitcnt lgkmcnt(0)
	v_add_co_u32 v3, vcc_lo, s2, v3
	s_delay_alu instid0(VALU_DEP_2) | instskip(SKIP_2) | instid1(VALU_DEP_1)
	v_add_co_ci_u32_e32 v4, vcc_lo, s3, v4, vcc_lo
	global_load_b32 v4, v[3:4], off
	v_lshlrev_b64 v[2:3], 1, v[1:2]
	v_add_co_u32 v2, vcc_lo, s0, v2
	s_delay_alu instid0(VALU_DEP_2) | instskip(SKIP_3) | instid1(VALU_DEP_1)
	v_add_co_ci_u32_e32 v3, vcc_lo, s1, v3, vcc_lo
	s_mov_b32 s0, exec_lo
	global_load_u16 v2, v[2:3], off
	v_mbcnt_lo_u32_b32 v3, -1, 0
	v_and_b32_e32 v5, 15, v3
	s_delay_alu instid0(VALU_DEP_1) | instskip(SKIP_2) | instid1(VALU_DEP_1)
	v_cmp_ne_u32_e32 vcc_lo, 0, v5
	s_waitcnt vmcnt(1)
	v_mov_b32_dpp v6, v4 row_shr:1 row_mask:0xf bank_mask:0xf
	v_cndmask_b32_e32 v6, 0, v6, vcc_lo
	v_cmp_lt_u32_e32 vcc_lo, 1, v5
	s_delay_alu instid0(VALU_DEP_2) | instskip(NEXT) | instid1(VALU_DEP_1)
	v_add_nc_u32_e32 v4, v6, v4
	v_mov_b32_dpp v6, v4 row_shr:2 row_mask:0xf bank_mask:0xf
	s_delay_alu instid0(VALU_DEP_1) | instskip(SKIP_1) | instid1(VALU_DEP_2)
	v_cndmask_b32_e32 v6, 0, v6, vcc_lo
	v_cmp_lt_u32_e32 vcc_lo, 3, v5
	v_add_nc_u32_e32 v4, v4, v6
	s_delay_alu instid0(VALU_DEP_1) | instskip(NEXT) | instid1(VALU_DEP_1)
	v_mov_b32_dpp v6, v4 row_shr:4 row_mask:0xf bank_mask:0xf
	v_cndmask_b32_e32 v6, 0, v6, vcc_lo
	v_cmp_lt_u32_e32 vcc_lo, 7, v5
	s_delay_alu instid0(VALU_DEP_2) | instskip(NEXT) | instid1(VALU_DEP_1)
	v_add_nc_u32_e32 v4, v4, v6
	v_mov_b32_dpp v6, v4 row_shr:8 row_mask:0xf bank_mask:0xf
	s_delay_alu instid0(VALU_DEP_1) | instskip(SKIP_1) | instid1(VALU_DEP_2)
	v_cndmask_b32_e32 v5, 0, v6, vcc_lo
	v_bfe_i32 v6, v3, 4, 1
	v_add_nc_u32_e32 v4, v4, v5
	ds_swizzle_b32 v5, v4 offset:swizzle(BROADCAST,32,15)
	s_waitcnt lgkmcnt(0)
	v_and_b32_e32 v5, v6, v5
	v_lshrrev_b32_e32 v6, 5, v0
	s_delay_alu instid0(VALU_DEP_2)
	v_add_nc_u32_e32 v5, v4, v5
	v_cmpx_eq_u32_e64 v7, v0
	s_cbranch_execz .LBB6_2
; %bb.1:
	s_delay_alu instid0(VALU_DEP_3)
	v_lshlrev_b32_e32 v4, 2, v6
	ds_store_b32 v4, v5
.LBB6_2:
	s_or_b32 exec_lo, exec_lo, s0
	v_lshlrev_b32_e32 v4, 2, v0
	s_mov_b32 s0, exec_lo
	s_waitcnt vmcnt(0) lgkmcnt(0)
	s_barrier
	buffer_gl0_inv
	v_cmpx_gt_u32_e32 8, v0
	s_cbranch_execz .LBB6_4
; %bb.3:
	ds_load_b32 v7, v4
	s_waitcnt lgkmcnt(0)
	v_mov_b32_dpp v9, v7 row_shr:1 row_mask:0xf bank_mask:0xf
	v_and_b32_e32 v8, 7, v3
	s_delay_alu instid0(VALU_DEP_1) | instskip(NEXT) | instid1(VALU_DEP_3)
	v_cmp_ne_u32_e32 vcc_lo, 0, v8
	v_cndmask_b32_e32 v9, 0, v9, vcc_lo
	v_cmp_lt_u32_e32 vcc_lo, 1, v8
	s_delay_alu instid0(VALU_DEP_2) | instskip(NEXT) | instid1(VALU_DEP_1)
	v_add_nc_u32_e32 v7, v9, v7
	v_mov_b32_dpp v9, v7 row_shr:2 row_mask:0xf bank_mask:0xf
	s_delay_alu instid0(VALU_DEP_1) | instskip(SKIP_1) | instid1(VALU_DEP_2)
	v_cndmask_b32_e32 v9, 0, v9, vcc_lo
	v_cmp_lt_u32_e32 vcc_lo, 3, v8
	v_add_nc_u32_e32 v7, v7, v9
	s_delay_alu instid0(VALU_DEP_1) | instskip(NEXT) | instid1(VALU_DEP_1)
	v_mov_b32_dpp v9, v7 row_shr:4 row_mask:0xf bank_mask:0xf
	v_cndmask_b32_e32 v8, 0, v9, vcc_lo
	s_delay_alu instid0(VALU_DEP_1)
	v_add_nc_u32_e32 v7, v7, v8
	ds_store_b32 v4, v7
.LBB6_4:
	s_or_b32 exec_lo, exec_lo, s0
	v_dual_mov_b32 v8, 0 :: v_dual_mov_b32 v7, 0
	s_mov_b32 s0, exec_lo
	s_waitcnt lgkmcnt(0)
	s_barrier
	buffer_gl0_inv
	v_cmpx_lt_u32_e32 31, v0
	s_cbranch_execz .LBB6_6
; %bb.5:
	v_lshl_add_u32 v6, v6, 2, -4
	ds_load_b32 v7, v6
.LBB6_6:
	s_or_b32 exec_lo, exec_lo, s0
	v_add_nc_u32_e32 v6, -1, v3
	ds_load_b32 v8, v8 offset:28
	v_cmp_eq_u32_e64 s0, 0, v3
	s_mov_b32 s15, 0
	s_waitcnt lgkmcnt(0)
	v_cmp_gt_i32_e32 vcc_lo, 0, v6
	s_barrier
	buffer_gl0_inv
	v_dual_cndmask_b32 v6, v6, v3 :: v_dual_add_nc_u32 v5, v7, v5
	s_delay_alu instid0(VALU_DEP_1)
	v_lshlrev_b32_e32 v6, 2, v6
	ds_bpermute_b32 v5, v6, v5
	v_cmp_eq_u32_e32 vcc_lo, 0, v8
	v_lshlrev_b32_e32 v6, 1, v0
	v_readfirstlane_b32 s16, v8
	s_and_b32 vcc_lo, exec_lo, vcc_lo
	s_waitcnt lgkmcnt(0)
	v_cndmask_b32_e64 v3, v5, v7, s0
	ds_store_b16 v6, v2
	ds_store_b32 v4, v3 offset:512
	s_waitcnt lgkmcnt(0)
	s_barrier
	buffer_gl0_inv
	s_cbranch_vccnz .LBB6_91
; %bb.7:
	v_mul_lo_u32 v1, v1, 14
	v_mov_b32_e32 v2, 0
	v_mul_u32_u24_e32 v0, 14, v0
	s_mov_b32 s17, s16
	s_mov_b32 s14, s15
	s_delay_alu instid0(VALU_DEP_3)
	v_dual_mov_b32 v22, 0x80 :: v_dual_add_nc_u32 v7, 3, v1
	ds_load_b32 v4, v2 offset:1024
	v_lshlrev_b64 v[11:12], 1, v[1:2]
	v_lshlrev_b64 v[2:3], 2, v[1:2]
	v_or_b32_e32 v5, 1, v1
	v_add_nc_u32_e32 v6, 2, v1
	v_add_nc_u32_e32 v8, 4, v1
	;; [unrolled: 1-line block ×3, first 2 shown]
	v_add_co_u32 v11, vcc_lo, s4, v11
	v_add_co_ci_u32_e32 v12, vcc_lo, s5, v12, vcc_lo
	v_add_co_u32 v20, vcc_lo, s6, v2
	v_add_nc_u32_e32 v10, 6, v1
	v_add_nc_u32_e32 v13, 7, v1
	;; [unrolled: 1-line block ×8, first 2 shown]
	v_add_co_ci_u32_e32 v21, vcc_lo, s7, v3, vcc_lo
	s_branch .LBB6_9
.LBB6_8:                                ;   in Loop: Header=BB6_9 Depth=1
	s_or_b32 exec_lo, exec_lo, s0
	s_addk_i32 s14, 0xe00
	s_addk_i32 s17, 0xf200
	s_cmp_lt_u32 s14, s16
	s_cbranch_scc0 .LBB6_91
.LBB6_9:                                ; =>This Inner Loop Header: Depth=1
	v_add_nc_u32_e32 v27, s14, v0
	s_waitcnt lgkmcnt(0)
	s_delay_alu instid0(VALU_DEP_1) | instskip(SKIP_2) | instid1(VALU_DEP_2)
	v_cmp_gt_u32_e32 vcc_lo, v4, v27
	v_cndmask_b32_e64 v3, 0xc0, 64, vcc_lo
	v_cndmask_b32_e64 v2, 0x81, 0, vcc_lo
	v_dual_cndmask_b32 v24, 0x100, v22 :: v_dual_lshlrev_b32 v23, 2, v3
	v_or_b32_e32 v25, 1, v3
	ds_load_b32 v23, v23 offset:512
	s_waitcnt lgkmcnt(0)
	v_cmp_gt_u32_e32 vcc_lo, v23, v27
	v_dual_cndmask_b32 v2, v25, v2 :: v_dual_cndmask_b32 v3, v24, v3
	s_delay_alu instid0(VALU_DEP_1) | instskip(NEXT) | instid1(VALU_DEP_1)
	v_sub_nc_u32_e32 v23, v3, v2
	v_lshrrev_b16 v24, 15, v23
	s_delay_alu instid0(VALU_DEP_1) | instskip(NEXT) | instid1(VALU_DEP_1)
	v_add_nc_u16 v23, v23, v24
	v_ashrrev_i16 v23, 1, v23
	s_delay_alu instid0(VALU_DEP_1) | instskip(NEXT) | instid1(VALU_DEP_1)
	v_bfe_i32 v23, v23, 0, 16
	v_add_nc_u32_e32 v23, v2, v23
	s_delay_alu instid0(VALU_DEP_1) | instskip(NEXT) | instid1(VALU_DEP_1)
	v_min_i32_e32 v23, 0xff, v23
	v_lshlrev_b32_e32 v24, 2, v23
	v_add_nc_u32_e32 v25, 1, v23
	ds_load_b32 v24, v24 offset:512
	s_waitcnt lgkmcnt(0)
	v_cmp_gt_u32_e32 vcc_lo, v24, v27
	v_dual_cndmask_b32 v2, v25, v2 :: v_dual_cndmask_b32 v3, v3, v23
	s_delay_alu instid0(VALU_DEP_1) | instskip(NEXT) | instid1(VALU_DEP_1)
	v_sub_nc_u32_e32 v23, v3, v2
	v_lshrrev_b16 v24, 15, v23
	s_delay_alu instid0(VALU_DEP_1) | instskip(NEXT) | instid1(VALU_DEP_1)
	v_add_nc_u16 v23, v23, v24
	v_ashrrev_i16 v23, 1, v23
	s_delay_alu instid0(VALU_DEP_1) | instskip(NEXT) | instid1(VALU_DEP_1)
	v_bfe_i32 v23, v23, 0, 16
	v_add_nc_u32_e32 v23, v2, v23
	s_delay_alu instid0(VALU_DEP_1) | instskip(NEXT) | instid1(VALU_DEP_1)
	v_min_i32_e32 v23, 0xff, v23
	v_lshlrev_b32_e32 v24, 2, v23
	v_add_nc_u32_e32 v25, 1, v23
	;; [unrolled: 17-line block ×6, first 2 shown]
	ds_load_b32 v24, v24 offset:512
	s_waitcnt lgkmcnt(0)
	v_cmp_gt_u32_e32 vcc_lo, v24, v27
	v_add_nc_u32_e32 v24, 1, v27
	v_dual_cndmask_b32 v2, v25, v2 :: v_dual_cndmask_b32 v3, v3, v23
	s_delay_alu instid0(VALU_DEP_1) | instskip(NEXT) | instid1(VALU_DEP_1)
	v_sub_nc_u32_e32 v3, v3, v2
	v_lshrrev_b16 v23, 15, v3
	s_delay_alu instid0(VALU_DEP_1) | instskip(NEXT) | instid1(VALU_DEP_1)
	v_add_nc_u16 v3, v3, v23
	v_ashrrev_i16 v3, 1, v3
	s_delay_alu instid0(VALU_DEP_1) | instskip(NEXT) | instid1(VALU_DEP_1)
	v_bfe_i32 v3, v3, 0, 16
	v_add_nc_u32_e32 v3, v2, v3
	s_delay_alu instid0(VALU_DEP_1) | instskip(NEXT) | instid1(VALU_DEP_1)
	v_min_i32_e32 v3, 0xff, v3
	v_lshlrev_b32_e32 v23, 2, v3
	v_add_nc_u32_e32 v3, 1, v3
	ds_load_b32 v23, v23 offset:512
	s_waitcnt lgkmcnt(0)
	v_cmp_gt_u32_e32 vcc_lo, v23, v27
	v_cndmask_b32_e32 v35, v3, v2, vcc_lo
	s_delay_alu instid0(VALU_DEP_1)
	v_lshlrev_b32_e32 v25, 2, v35
	v_lshl_add_u32 v23, v35, 1, -2
	ds_load_2addr_b32 v[2:3], v25 offset0:127 offset1:128
	ds_load_u16 v32, v23
	s_waitcnt lgkmcnt(1)
	v_sub_nc_u32_e32 v23, v27, v2
	v_cmp_eq_u32_e32 vcc_lo, v24, v3
	s_waitcnt lgkmcnt(0)
	s_delay_alu instid0(VALU_DEP_2)
	v_dual_mov_b32 v33, v32 :: v_dual_mov_b32 v24, v23
	s_and_saveexec_b32 s0, vcc_lo
	s_cbranch_execz .LBB6_11
; %bb.10:                               ;   in Loop: Header=BB6_9 Depth=1
	v_lshlrev_b32_e32 v2, 1, v35
	v_add_nc_u32_e32 v35, 1, v35
	v_sub_nc_u32_e32 v24, v27, v3
	ds_load_b32 v25, v25 offset:516
	ds_load_u16 v33, v2
	s_waitcnt lgkmcnt(1)
	v_mov_b32_e32 v3, v25
.LBB6_11:                               ;   in Loop: Header=BB6_9 Depth=1
	s_or_b32 exec_lo, exec_lo, s0
	s_delay_alu instid0(VALU_DEP_1) | instskip(SKIP_3) | instid1(VALU_DEP_2)
	v_dual_mov_b32 v25, v24 :: v_dual_add_nc_u32 v2, 2, v27
	s_waitcnt lgkmcnt(0)
	v_mov_b32_e32 v36, v33
	s_mov_b32 s0, exec_lo
	v_cmpx_eq_u32_e64 v2, v3
	s_cbranch_execz .LBB6_13
; %bb.12:                               ;   in Loop: Header=BB6_9 Depth=1
	v_lshlrev_b32_e32 v2, 1, v35
	v_add_nc_u32_e32 v35, 1, v35
	s_delay_alu instid0(VALU_DEP_1)
	v_lshlrev_b32_e32 v25, 2, v35
	ds_load_b32 v26, v25 offset:512
	ds_load_u16 v36, v2
	v_sub_nc_u32_e32 v25, v27, v3
	s_waitcnt lgkmcnt(1)
	v_mov_b32_e32 v3, v26
.LBB6_13:                               ;   in Loop: Header=BB6_9 Depth=1
	s_or_b32 exec_lo, exec_lo, s0
	v_add_nc_u32_e32 v2, 3, v27
	v_mov_b32_e32 v26, v25
	s_waitcnt lgkmcnt(0)
	v_mov_b32_e32 v38, v36
	s_mov_b32 s0, exec_lo
	v_cmpx_eq_u32_e64 v2, v3
	s_cbranch_execz .LBB6_15
; %bb.14:                               ;   in Loop: Header=BB6_9 Depth=1
	v_lshlrev_b32_e32 v2, 2, v35
	v_lshlrev_b32_e32 v26, 1, v35
	v_add_nc_u32_e32 v35, 1, v35
	ds_load_2addr_b32 v[2:3], v2 offset0:128 offset1:129
	ds_load_u16 v38, v26
	s_waitcnt lgkmcnt(1)
	v_sub_nc_u32_e32 v26, v27, v2
.LBB6_15:                               ;   in Loop: Header=BB6_9 Depth=1
	s_or_b32 exec_lo, exec_lo, s0
	v_add_nc_u32_e32 v2, 4, v27
	s_delay_alu instid0(VALU_DEP_2)
	v_mov_b32_e32 v28, v26
	s_waitcnt lgkmcnt(0)
	v_mov_b32_e32 v40, v38
	s_mov_b32 s0, exec_lo
	v_cmpx_eq_u32_e64 v2, v3
	s_cbranch_execz .LBB6_17
; %bb.16:                               ;   in Loop: Header=BB6_9 Depth=1
	v_lshlrev_b32_e32 v2, 2, v35
	v_lshlrev_b32_e32 v28, 1, v35
	v_add_nc_u32_e32 v35, 1, v35
	ds_load_2addr_b32 v[2:3], v2 offset0:128 offset1:129
	ds_load_u16 v40, v28
	s_waitcnt lgkmcnt(1)
	v_sub_nc_u32_e32 v28, v27, v2
.LBB6_17:                               ;   in Loop: Header=BB6_9 Depth=1
	s_or_b32 exec_lo, exec_lo, s0
	s_delay_alu instid0(VALU_DEP_1) | instskip(SKIP_3) | instid1(VALU_DEP_2)
	v_dual_mov_b32 v29, v28 :: v_dual_add_nc_u32 v2, 5, v27
	s_waitcnt lgkmcnt(0)
	v_mov_b32_e32 v42, v40
	s_mov_b32 s0, exec_lo
	v_cmpx_eq_u32_e64 v2, v3
	s_cbranch_execz .LBB6_19
; %bb.18:                               ;   in Loop: Header=BB6_9 Depth=1
	v_lshlrev_b32_e32 v2, 2, v35
	v_lshlrev_b32_e32 v29, 1, v35
	v_add_nc_u32_e32 v35, 1, v35
	ds_load_2addr_b32 v[2:3], v2 offset0:128 offset1:129
	ds_load_u16 v42, v29
	s_waitcnt lgkmcnt(1)
	v_sub_nc_u32_e32 v29, v27, v2
.LBB6_19:                               ;   in Loop: Header=BB6_9 Depth=1
	s_or_b32 exec_lo, exec_lo, s0
	v_add_nc_u32_e32 v2, 6, v27
	s_delay_alu instid0(VALU_DEP_2)
	v_mov_b32_e32 v30, v29
	s_waitcnt lgkmcnt(0)
	v_mov_b32_e32 v44, v42
	s_mov_b32 s0, exec_lo
	v_cmpx_eq_u32_e64 v2, v3
	s_cbranch_execz .LBB6_21
; %bb.20:                               ;   in Loop: Header=BB6_9 Depth=1
	v_lshlrev_b32_e32 v2, 2, v35
	v_lshlrev_b32_e32 v30, 1, v35
	v_add_nc_u32_e32 v35, 1, v35
	ds_load_2addr_b32 v[2:3], v2 offset0:128 offset1:129
	ds_load_u16 v44, v30
	s_waitcnt lgkmcnt(1)
	v_sub_nc_u32_e32 v30, v27, v2
.LBB6_21:                               ;   in Loop: Header=BB6_9 Depth=1
	s_or_b32 exec_lo, exec_lo, s0
	s_delay_alu instid0(VALU_DEP_1) | instskip(SKIP_3) | instid1(VALU_DEP_2)
	v_dual_mov_b32 v31, v30 :: v_dual_add_nc_u32 v2, 7, v27
	s_waitcnt lgkmcnt(0)
	v_mov_b32_e32 v46, v44
	s_mov_b32 s0, exec_lo
	v_cmpx_eq_u32_e64 v2, v3
	s_cbranch_execz .LBB6_23
; %bb.22:                               ;   in Loop: Header=BB6_9 Depth=1
	v_lshlrev_b32_e32 v2, 2, v35
	v_lshlrev_b32_e32 v31, 1, v35
	v_add_nc_u32_e32 v35, 1, v35
	ds_load_2addr_b32 v[2:3], v2 offset0:128 offset1:129
	ds_load_u16 v46, v31
	s_waitcnt lgkmcnt(1)
	v_sub_nc_u32_e32 v31, v27, v2
.LBB6_23:                               ;   in Loop: Header=BB6_9 Depth=1
	s_or_b32 exec_lo, exec_lo, s0
	s_waitcnt lgkmcnt(0)
	v_dual_mov_b32 v47, v46 :: v_dual_add_nc_u32 v2, 8, v27
	s_delay_alu instid0(VALU_DEP_2) | instskip(SKIP_1) | instid1(VALU_DEP_2)
	v_mov_b32_e32 v34, v31
	s_mov_b32 s0, exec_lo
	v_cmpx_eq_u32_e64 v2, v3
	s_cbranch_execz .LBB6_25
; %bb.24:                               ;   in Loop: Header=BB6_9 Depth=1
	v_lshlrev_b32_e32 v2, 2, v35
	v_lshlrev_b32_e32 v34, 1, v35
	v_add_nc_u32_e32 v35, 1, v35
	ds_load_2addr_b32 v[2:3], v2 offset0:128 offset1:129
	ds_load_u16 v47, v34
	s_waitcnt lgkmcnt(1)
	v_sub_nc_u32_e32 v34, v27, v2
.LBB6_25:                               ;   in Loop: Header=BB6_9 Depth=1
	s_or_b32 exec_lo, exec_lo, s0
	s_delay_alu instid0(VALU_DEP_1) | instskip(SKIP_3) | instid1(VALU_DEP_2)
	v_dual_mov_b32 v37, v34 :: v_dual_add_nc_u32 v2, 9, v27
	s_waitcnt lgkmcnt(0)
	v_mov_b32_e32 v48, v47
	s_mov_b32 s0, exec_lo
	v_cmpx_eq_u32_e64 v2, v3
	s_cbranch_execz .LBB6_27
; %bb.26:                               ;   in Loop: Header=BB6_9 Depth=1
	v_lshlrev_b32_e32 v2, 2, v35
	v_lshlrev_b32_e32 v37, 1, v35
	v_add_nc_u32_e32 v35, 1, v35
	ds_load_2addr_b32 v[2:3], v2 offset0:128 offset1:129
	ds_load_u16 v48, v37
	s_waitcnt lgkmcnt(1)
	v_sub_nc_u32_e32 v37, v27, v2
.LBB6_27:                               ;   in Loop: Header=BB6_9 Depth=1
	s_or_b32 exec_lo, exec_lo, s0
	s_delay_alu instid0(VALU_DEP_1) | instskip(SKIP_3) | instid1(VALU_DEP_2)
	v_dual_mov_b32 v39, v37 :: v_dual_add_nc_u32 v2, 10, v27
	s_waitcnt lgkmcnt(0)
	;; [unrolled: 17-line block ×5, first 2 shown]
	v_mov_b32_e32 v52, v51
	s_mov_b32 s0, exec_lo
	v_cmpx_eq_u32_e64 v2, v3
	s_cbranch_execz .LBB6_35
; %bb.34:                               ;   in Loop: Header=BB6_9 Depth=1
	v_lshlrev_b32_e32 v2, 2, v35
	v_lshlrev_b32_e32 v3, 1, v35
	ds_load_b32 v2, v2 offset:512
	ds_load_u16 v52, v3
	s_waitcnt lgkmcnt(1)
	v_sub_nc_u32_e32 v45, v27, v2
.LBB6_35:                               ;   in Loop: Header=BB6_9 Depth=1
	s_or_b32 exec_lo, exec_lo, s0
	s_lshl_b64 s[0:1], s[14:15], 1
	s_min_u32 s12, s17, 0xe00
	v_add_co_u32 v2, vcc_lo, v11, s0
	v_add_co_ci_u32_e32 v3, vcc_lo, s1, v12, vcc_lo
	v_cmp_gt_u32_e32 vcc_lo, s12, v1
	s_and_saveexec_b32 s0, vcc_lo
	s_cbranch_execnz .LBB6_64
; %bb.36:                               ;   in Loop: Header=BB6_9 Depth=1
	s_or_b32 exec_lo, exec_lo, s0
	v_cmp_gt_u32_e64 s0, s12, v5
	s_delay_alu instid0(VALU_DEP_1)
	s_and_saveexec_b32 s1, s0
	s_cbranch_execnz .LBB6_65
.LBB6_37:                               ;   in Loop: Header=BB6_9 Depth=1
	s_or_b32 exec_lo, exec_lo, s1
	v_cmp_gt_u32_e64 s1, s12, v6
	s_delay_alu instid0(VALU_DEP_1)
	s_and_saveexec_b32 s2, s1
	s_cbranch_execnz .LBB6_66
.LBB6_38:                               ;   in Loop: Header=BB6_9 Depth=1
	s_or_b32 exec_lo, exec_lo, s2
	v_cmp_gt_u32_e64 s2, s12, v7
	s_delay_alu instid0(VALU_DEP_1)
	s_and_saveexec_b32 s3, s2
	s_cbranch_execnz .LBB6_67
.LBB6_39:                               ;   in Loop: Header=BB6_9 Depth=1
	s_or_b32 exec_lo, exec_lo, s3
	v_cmp_gt_u32_e64 s3, s12, v8
	s_delay_alu instid0(VALU_DEP_1)
	s_and_saveexec_b32 s4, s3
	s_cbranch_execnz .LBB6_68
.LBB6_40:                               ;   in Loop: Header=BB6_9 Depth=1
	s_or_b32 exec_lo, exec_lo, s4
	v_cmp_gt_u32_e64 s4, s12, v9
	s_delay_alu instid0(VALU_DEP_1)
	s_and_saveexec_b32 s5, s4
	s_cbranch_execnz .LBB6_69
.LBB6_41:                               ;   in Loop: Header=BB6_9 Depth=1
	s_or_b32 exec_lo, exec_lo, s5
	v_cmp_gt_u32_e64 s5, s12, v10
	s_delay_alu instid0(VALU_DEP_1)
	s_and_saveexec_b32 s6, s5
	s_cbranch_execnz .LBB6_70
.LBB6_42:                               ;   in Loop: Header=BB6_9 Depth=1
	s_or_b32 exec_lo, exec_lo, s6
	v_cmp_gt_u32_e64 s6, s12, v13
	s_delay_alu instid0(VALU_DEP_1)
	s_and_saveexec_b32 s7, s6
	s_cbranch_execnz .LBB6_71
.LBB6_43:                               ;   in Loop: Header=BB6_9 Depth=1
	s_or_b32 exec_lo, exec_lo, s7
	v_cmp_gt_u32_e64 s7, s12, v14
	s_delay_alu instid0(VALU_DEP_1)
	s_and_saveexec_b32 s8, s7
	s_cbranch_execnz .LBB6_72
.LBB6_44:                               ;   in Loop: Header=BB6_9 Depth=1
	s_or_b32 exec_lo, exec_lo, s8
	v_cmp_gt_u32_e64 s8, s12, v15
	s_delay_alu instid0(VALU_DEP_1)
	s_and_saveexec_b32 s9, s8
	s_cbranch_execnz .LBB6_73
.LBB6_45:                               ;   in Loop: Header=BB6_9 Depth=1
	s_or_b32 exec_lo, exec_lo, s9
	v_cmp_gt_u32_e64 s9, s12, v16
	s_delay_alu instid0(VALU_DEP_1)
	s_and_saveexec_b32 s10, s9
	s_cbranch_execnz .LBB6_74
.LBB6_46:                               ;   in Loop: Header=BB6_9 Depth=1
	s_or_b32 exec_lo, exec_lo, s10
	v_cmp_gt_u32_e64 s10, s12, v17
	s_delay_alu instid0(VALU_DEP_1)
	s_and_saveexec_b32 s11, s10
	s_cbranch_execnz .LBB6_75
.LBB6_47:                               ;   in Loop: Header=BB6_9 Depth=1
	s_or_b32 exec_lo, exec_lo, s11
	v_cmp_gt_u32_e64 s11, s12, v18
	s_delay_alu instid0(VALU_DEP_1)
	s_and_saveexec_b32 s13, s11
	s_cbranch_execnz .LBB6_76
.LBB6_48:                               ;   in Loop: Header=BB6_9 Depth=1
	s_or_b32 exec_lo, exec_lo, s13
	v_cmp_gt_u32_e64 s12, s12, v19
	s_delay_alu instid0(VALU_DEP_1)
	s_and_saveexec_b32 s13, s12
	s_cbranch_execz .LBB6_50
.LBB6_49:                               ;   in Loop: Header=BB6_9 Depth=1
	s_waitcnt lgkmcnt(0)
	global_store_b16 v[2:3], v52, off offset:26
.LBB6_50:                               ;   in Loop: Header=BB6_9 Depth=1
	s_or_b32 exec_lo, exec_lo, s13
	s_lshl_b64 s[18:19], s[14:15], 2
	s_delay_alu instid0(SALU_CYCLE_1) | instskip(NEXT) | instid1(VALU_DEP_1)
	v_add_co_u32 v2, s13, v20, s18
	v_add_co_ci_u32_e64 v3, s13, s19, v21, s13
	s_and_saveexec_b32 s13, vcc_lo
	s_cbranch_execnz .LBB6_77
; %bb.51:                               ;   in Loop: Header=BB6_9 Depth=1
	s_or_b32 exec_lo, exec_lo, s13
	s_and_saveexec_b32 s13, s0
	s_cbranch_execnz .LBB6_78
.LBB6_52:                               ;   in Loop: Header=BB6_9 Depth=1
	s_or_b32 exec_lo, exec_lo, s13
	s_and_saveexec_b32 s0, s1
	s_cbranch_execnz .LBB6_79
.LBB6_53:                               ;   in Loop: Header=BB6_9 Depth=1
	s_or_b32 exec_lo, exec_lo, s0
	s_and_saveexec_b32 s0, s2
	s_cbranch_execnz .LBB6_80
.LBB6_54:                               ;   in Loop: Header=BB6_9 Depth=1
	s_or_b32 exec_lo, exec_lo, s0
	s_and_saveexec_b32 s0, s3
	s_cbranch_execnz .LBB6_81
.LBB6_55:                               ;   in Loop: Header=BB6_9 Depth=1
	s_or_b32 exec_lo, exec_lo, s0
	s_and_saveexec_b32 s0, s4
	s_cbranch_execnz .LBB6_82
.LBB6_56:                               ;   in Loop: Header=BB6_9 Depth=1
	s_or_b32 exec_lo, exec_lo, s0
	s_and_saveexec_b32 s0, s5
	s_cbranch_execnz .LBB6_83
.LBB6_57:                               ;   in Loop: Header=BB6_9 Depth=1
	s_or_b32 exec_lo, exec_lo, s0
	s_and_saveexec_b32 s0, s6
	s_cbranch_execnz .LBB6_84
.LBB6_58:                               ;   in Loop: Header=BB6_9 Depth=1
	s_or_b32 exec_lo, exec_lo, s0
	s_and_saveexec_b32 s0, s7
	s_cbranch_execnz .LBB6_85
.LBB6_59:                               ;   in Loop: Header=BB6_9 Depth=1
	s_or_b32 exec_lo, exec_lo, s0
	s_and_saveexec_b32 s0, s8
	s_cbranch_execnz .LBB6_86
.LBB6_60:                               ;   in Loop: Header=BB6_9 Depth=1
	s_or_b32 exec_lo, exec_lo, s0
	s_and_saveexec_b32 s0, s9
	s_cbranch_execnz .LBB6_87
.LBB6_61:                               ;   in Loop: Header=BB6_9 Depth=1
	s_or_b32 exec_lo, exec_lo, s0
	s_and_saveexec_b32 s0, s10
	s_cbranch_execnz .LBB6_88
.LBB6_62:                               ;   in Loop: Header=BB6_9 Depth=1
	s_or_b32 exec_lo, exec_lo, s0
	s_and_saveexec_b32 s0, s11
	s_cbranch_execnz .LBB6_89
.LBB6_63:                               ;   in Loop: Header=BB6_9 Depth=1
	s_or_b32 exec_lo, exec_lo, s0
	s_and_saveexec_b32 s0, s12
	s_cbranch_execz .LBB6_8
	s_branch .LBB6_90
.LBB6_64:                               ;   in Loop: Header=BB6_9 Depth=1
	global_store_b16 v[2:3], v32, off
	s_or_b32 exec_lo, exec_lo, s0
	v_cmp_gt_u32_e64 s0, s12, v5
	s_delay_alu instid0(VALU_DEP_1)
	s_and_saveexec_b32 s1, s0
	s_cbranch_execz .LBB6_37
.LBB6_65:                               ;   in Loop: Header=BB6_9 Depth=1
	global_store_b16 v[2:3], v33, off offset:2
	s_or_b32 exec_lo, exec_lo, s1
	v_cmp_gt_u32_e64 s1, s12, v6
	s_delay_alu instid0(VALU_DEP_1)
	s_and_saveexec_b32 s2, s1
	s_cbranch_execz .LBB6_38
.LBB6_66:                               ;   in Loop: Header=BB6_9 Depth=1
	global_store_b16 v[2:3], v36, off offset:4
	s_or_b32 exec_lo, exec_lo, s2
	v_cmp_gt_u32_e64 s2, s12, v7
	s_delay_alu instid0(VALU_DEP_1)
	s_and_saveexec_b32 s3, s2
	s_cbranch_execz .LBB6_39
.LBB6_67:                               ;   in Loop: Header=BB6_9 Depth=1
	global_store_b16 v[2:3], v38, off offset:6
	s_or_b32 exec_lo, exec_lo, s3
	v_cmp_gt_u32_e64 s3, s12, v8
	s_delay_alu instid0(VALU_DEP_1)
	s_and_saveexec_b32 s4, s3
	s_cbranch_execz .LBB6_40
.LBB6_68:                               ;   in Loop: Header=BB6_9 Depth=1
	global_store_b16 v[2:3], v40, off offset:8
	s_or_b32 exec_lo, exec_lo, s4
	v_cmp_gt_u32_e64 s4, s12, v9
	s_delay_alu instid0(VALU_DEP_1)
	s_and_saveexec_b32 s5, s4
	s_cbranch_execz .LBB6_41
.LBB6_69:                               ;   in Loop: Header=BB6_9 Depth=1
	global_store_b16 v[2:3], v42, off offset:10
	s_or_b32 exec_lo, exec_lo, s5
	v_cmp_gt_u32_e64 s5, s12, v10
	s_delay_alu instid0(VALU_DEP_1)
	s_and_saveexec_b32 s6, s5
	s_cbranch_execz .LBB6_42
.LBB6_70:                               ;   in Loop: Header=BB6_9 Depth=1
	global_store_b16 v[2:3], v44, off offset:12
	s_or_b32 exec_lo, exec_lo, s6
	v_cmp_gt_u32_e64 s6, s12, v13
	s_delay_alu instid0(VALU_DEP_1)
	s_and_saveexec_b32 s7, s6
	s_cbranch_execz .LBB6_43
.LBB6_71:                               ;   in Loop: Header=BB6_9 Depth=1
	global_store_b16 v[2:3], v46, off offset:14
	s_or_b32 exec_lo, exec_lo, s7
	v_cmp_gt_u32_e64 s7, s12, v14
	s_delay_alu instid0(VALU_DEP_1)
	s_and_saveexec_b32 s8, s7
	s_cbranch_execz .LBB6_44
.LBB6_72:                               ;   in Loop: Header=BB6_9 Depth=1
	global_store_b16 v[2:3], v47, off offset:16
	s_or_b32 exec_lo, exec_lo, s8
	v_cmp_gt_u32_e64 s8, s12, v15
	s_delay_alu instid0(VALU_DEP_1)
	s_and_saveexec_b32 s9, s8
	s_cbranch_execz .LBB6_45
.LBB6_73:                               ;   in Loop: Header=BB6_9 Depth=1
	global_store_b16 v[2:3], v48, off offset:18
	s_or_b32 exec_lo, exec_lo, s9
	v_cmp_gt_u32_e64 s9, s12, v16
	s_delay_alu instid0(VALU_DEP_1)
	s_and_saveexec_b32 s10, s9
	s_cbranch_execz .LBB6_46
.LBB6_74:                               ;   in Loop: Header=BB6_9 Depth=1
	global_store_b16 v[2:3], v49, off offset:20
	s_or_b32 exec_lo, exec_lo, s10
	v_cmp_gt_u32_e64 s10, s12, v17
	s_delay_alu instid0(VALU_DEP_1)
	s_and_saveexec_b32 s11, s10
	s_cbranch_execz .LBB6_47
.LBB6_75:                               ;   in Loop: Header=BB6_9 Depth=1
	global_store_b16 v[2:3], v50, off offset:22
	s_or_b32 exec_lo, exec_lo, s11
	v_cmp_gt_u32_e64 s11, s12, v18
	s_delay_alu instid0(VALU_DEP_1)
	s_and_saveexec_b32 s13, s11
	s_cbranch_execz .LBB6_48
.LBB6_76:                               ;   in Loop: Header=BB6_9 Depth=1
	global_store_b16 v[2:3], v51, off offset:24
	s_or_b32 exec_lo, exec_lo, s13
	v_cmp_gt_u32_e64 s12, s12, v19
	s_delay_alu instid0(VALU_DEP_1)
	s_and_saveexec_b32 s13, s12
	s_cbranch_execnz .LBB6_49
	s_branch .LBB6_50
.LBB6_77:                               ;   in Loop: Header=BB6_9 Depth=1
	global_store_b32 v[2:3], v23, off
	s_or_b32 exec_lo, exec_lo, s13
	s_and_saveexec_b32 s13, s0
	s_cbranch_execz .LBB6_52
.LBB6_78:                               ;   in Loop: Header=BB6_9 Depth=1
	v_add_nc_u32_e32 v23, 1, v24
	global_store_b32 v[2:3], v23, off offset:4
	s_or_b32 exec_lo, exec_lo, s13
	s_and_saveexec_b32 s0, s1
	s_cbranch_execz .LBB6_53
.LBB6_79:                               ;   in Loop: Header=BB6_9 Depth=1
	v_add_nc_u32_e32 v23, 2, v25
	global_store_b32 v[2:3], v23, off offset:8
	s_or_b32 exec_lo, exec_lo, s0
	s_and_saveexec_b32 s0, s2
	s_cbranch_execz .LBB6_54
.LBB6_80:                               ;   in Loop: Header=BB6_9 Depth=1
	v_add_nc_u32_e32 v23, 3, v26
	global_store_b32 v[2:3], v23, off offset:12
	s_or_b32 exec_lo, exec_lo, s0
	s_and_saveexec_b32 s0, s3
	s_cbranch_execz .LBB6_55
.LBB6_81:                               ;   in Loop: Header=BB6_9 Depth=1
	v_add_nc_u32_e32 v23, 4, v28
	global_store_b32 v[2:3], v23, off offset:16
	s_or_b32 exec_lo, exec_lo, s0
	s_and_saveexec_b32 s0, s4
	s_cbranch_execz .LBB6_56
.LBB6_82:                               ;   in Loop: Header=BB6_9 Depth=1
	v_add_nc_u32_e32 v23, 5, v29
	global_store_b32 v[2:3], v23, off offset:20
	s_or_b32 exec_lo, exec_lo, s0
	s_and_saveexec_b32 s0, s5
	s_cbranch_execz .LBB6_57
.LBB6_83:                               ;   in Loop: Header=BB6_9 Depth=1
	v_add_nc_u32_e32 v23, 6, v30
	global_store_b32 v[2:3], v23, off offset:24
	s_or_b32 exec_lo, exec_lo, s0
	s_and_saveexec_b32 s0, s6
	s_cbranch_execz .LBB6_58
.LBB6_84:                               ;   in Loop: Header=BB6_9 Depth=1
	v_add_nc_u32_e32 v23, 7, v31
	global_store_b32 v[2:3], v23, off offset:28
	s_or_b32 exec_lo, exec_lo, s0
	s_and_saveexec_b32 s0, s7
	s_cbranch_execz .LBB6_59
.LBB6_85:                               ;   in Loop: Header=BB6_9 Depth=1
	v_add_nc_u32_e32 v23, 8, v34
	global_store_b32 v[2:3], v23, off offset:32
	s_or_b32 exec_lo, exec_lo, s0
	s_and_saveexec_b32 s0, s8
	s_cbranch_execz .LBB6_60
.LBB6_86:                               ;   in Loop: Header=BB6_9 Depth=1
	v_add_nc_u32_e32 v23, 9, v37
	global_store_b32 v[2:3], v23, off offset:36
	s_or_b32 exec_lo, exec_lo, s0
	s_and_saveexec_b32 s0, s9
	s_cbranch_execz .LBB6_61
.LBB6_87:                               ;   in Loop: Header=BB6_9 Depth=1
	v_add_nc_u32_e32 v23, 10, v39
	global_store_b32 v[2:3], v23, off offset:40
	s_or_b32 exec_lo, exec_lo, s0
	s_and_saveexec_b32 s0, s10
	s_cbranch_execz .LBB6_62
.LBB6_88:                               ;   in Loop: Header=BB6_9 Depth=1
	v_add_nc_u32_e32 v23, 11, v41
	global_store_b32 v[2:3], v23, off offset:44
	s_or_b32 exec_lo, exec_lo, s0
	s_and_saveexec_b32 s0, s11
	s_cbranch_execz .LBB6_63
.LBB6_89:                               ;   in Loop: Header=BB6_9 Depth=1
	v_add_nc_u32_e32 v23, 12, v43
	global_store_b32 v[2:3], v23, off offset:48
	s_or_b32 exec_lo, exec_lo, s0
	s_and_saveexec_b32 s0, s12
	s_cbranch_execz .LBB6_8
.LBB6_90:                               ;   in Loop: Header=BB6_9 Depth=1
	v_add_nc_u32_e32 v23, 13, v45
	global_store_b32 v[2:3], v23, off offset:52
	s_branch .LBB6_8
.LBB6_91:
	s_nop 0
	s_sendmsg sendmsg(MSG_DEALLOC_VGPRS)
	s_endpgm
	.section	.rodata,"a",@progbits
	.p2align	6, 0x0
	.amdhsa_kernel _Z30block_run_length_decode_kernelI12hip_bfloat16iLj256ELj1ELj14EEvPKT_PKT0_PS1_PS4_
		.amdhsa_group_segment_fixed_size 1536
		.amdhsa_private_segment_fixed_size 0
		.amdhsa_kernarg_size 32
		.amdhsa_user_sgpr_count 15
		.amdhsa_user_sgpr_dispatch_ptr 0
		.amdhsa_user_sgpr_queue_ptr 0
		.amdhsa_user_sgpr_kernarg_segment_ptr 1
		.amdhsa_user_sgpr_dispatch_id 0
		.amdhsa_user_sgpr_private_segment_size 0
		.amdhsa_wavefront_size32 1
		.amdhsa_uses_dynamic_stack 0
		.amdhsa_enable_private_segment 0
		.amdhsa_system_sgpr_workgroup_id_x 1
		.amdhsa_system_sgpr_workgroup_id_y 0
		.amdhsa_system_sgpr_workgroup_id_z 0
		.amdhsa_system_sgpr_workgroup_info 0
		.amdhsa_system_vgpr_workitem_id 0
		.amdhsa_next_free_vgpr 53
		.amdhsa_next_free_sgpr 20
		.amdhsa_reserve_vcc 1
		.amdhsa_float_round_mode_32 0
		.amdhsa_float_round_mode_16_64 0
		.amdhsa_float_denorm_mode_32 3
		.amdhsa_float_denorm_mode_16_64 3
		.amdhsa_dx10_clamp 1
		.amdhsa_ieee_mode 1
		.amdhsa_fp16_overflow 0
		.amdhsa_workgroup_processor_mode 1
		.amdhsa_memory_ordered 1
		.amdhsa_forward_progress 0
		.amdhsa_shared_vgpr_count 0
		.amdhsa_exception_fp_ieee_invalid_op 0
		.amdhsa_exception_fp_denorm_src 0
		.amdhsa_exception_fp_ieee_div_zero 0
		.amdhsa_exception_fp_ieee_overflow 0
		.amdhsa_exception_fp_ieee_underflow 0
		.amdhsa_exception_fp_ieee_inexact 0
		.amdhsa_exception_int_div_zero 0
	.end_amdhsa_kernel
	.section	.text._Z30block_run_length_decode_kernelI12hip_bfloat16iLj256ELj1ELj14EEvPKT_PKT0_PS1_PS4_,"axG",@progbits,_Z30block_run_length_decode_kernelI12hip_bfloat16iLj256ELj1ELj14EEvPKT_PKT0_PS1_PS4_,comdat
.Lfunc_end6:
	.size	_Z30block_run_length_decode_kernelI12hip_bfloat16iLj256ELj1ELj14EEvPKT_PKT0_PS1_PS4_, .Lfunc_end6-_Z30block_run_length_decode_kernelI12hip_bfloat16iLj256ELj1ELj14EEvPKT_PKT0_PS1_PS4_
                                        ; -- End function
	.section	.AMDGPU.csdata,"",@progbits
; Kernel info:
; codeLenInByte = 3860
; NumSgprs: 22
; NumVgprs: 53
; ScratchSize: 0
; MemoryBound: 0
; FloatMode: 240
; IeeeMode: 1
; LDSByteSize: 1536 bytes/workgroup (compile time only)
; SGPRBlocks: 2
; VGPRBlocks: 6
; NumSGPRsForWavesPerEU: 22
; NumVGPRsForWavesPerEU: 53
; Occupancy: 16
; WaveLimiterHint : 0
; COMPUTE_PGM_RSRC2:SCRATCH_EN: 0
; COMPUTE_PGM_RSRC2:USER_SGPR: 15
; COMPUTE_PGM_RSRC2:TRAP_HANDLER: 0
; COMPUTE_PGM_RSRC2:TGID_X_EN: 1
; COMPUTE_PGM_RSRC2:TGID_Y_EN: 0
; COMPUTE_PGM_RSRC2:TGID_Z_EN: 0
; COMPUTE_PGM_RSRC2:TIDIG_COMP_CNT: 0
	.section	.text._Z30block_run_length_decode_kernelI6__halfiLj256ELj1ELj14EEvPKT_PKT0_PS1_PS4_,"axG",@progbits,_Z30block_run_length_decode_kernelI6__halfiLj256ELj1ELj14EEvPKT_PKT0_PS1_PS4_,comdat
	.protected	_Z30block_run_length_decode_kernelI6__halfiLj256ELj1ELj14EEvPKT_PKT0_PS1_PS4_ ; -- Begin function _Z30block_run_length_decode_kernelI6__halfiLj256ELj1ELj14EEvPKT_PKT0_PS1_PS4_
	.globl	_Z30block_run_length_decode_kernelI6__halfiLj256ELj1ELj14EEvPKT_PKT0_PS1_PS4_
	.p2align	8
	.type	_Z30block_run_length_decode_kernelI6__halfiLj256ELj1ELj14EEvPKT_PKT0_PS1_PS4_,@function
_Z30block_run_length_decode_kernelI6__halfiLj256ELj1ELj14EEvPKT_PKT0_PS1_PS4_: ; @_Z30block_run_length_decode_kernelI6__halfiLj256ELj1ELj14EEvPKT_PKT0_PS1_PS4_
; %bb.0:
	s_load_b256 s[0:7], s[0:1], 0x0
	v_mov_b32_e32 v2, 0
	v_lshl_or_b32 v1, s15, 8, v0
	v_or_b32_e32 v7, 31, v0
	s_delay_alu instid0(VALU_DEP_2) | instskip(SKIP_1) | instid1(VALU_DEP_1)
	v_lshlrev_b64 v[3:4], 2, v[1:2]
	s_waitcnt lgkmcnt(0)
	v_add_co_u32 v3, vcc_lo, s2, v3
	s_delay_alu instid0(VALU_DEP_2) | instskip(SKIP_2) | instid1(VALU_DEP_1)
	v_add_co_ci_u32_e32 v4, vcc_lo, s3, v4, vcc_lo
	global_load_b32 v4, v[3:4], off
	v_lshlrev_b64 v[2:3], 1, v[1:2]
	v_add_co_u32 v2, vcc_lo, s0, v2
	s_delay_alu instid0(VALU_DEP_2) | instskip(SKIP_3) | instid1(VALU_DEP_1)
	v_add_co_ci_u32_e32 v3, vcc_lo, s1, v3, vcc_lo
	s_mov_b32 s0, exec_lo
	global_load_u16 v2, v[2:3], off
	v_mbcnt_lo_u32_b32 v3, -1, 0
	v_and_b32_e32 v5, 15, v3
	s_delay_alu instid0(VALU_DEP_1) | instskip(SKIP_2) | instid1(VALU_DEP_1)
	v_cmp_ne_u32_e32 vcc_lo, 0, v5
	s_waitcnt vmcnt(1)
	v_mov_b32_dpp v6, v4 row_shr:1 row_mask:0xf bank_mask:0xf
	v_cndmask_b32_e32 v6, 0, v6, vcc_lo
	v_cmp_lt_u32_e32 vcc_lo, 1, v5
	s_delay_alu instid0(VALU_DEP_2) | instskip(NEXT) | instid1(VALU_DEP_1)
	v_add_nc_u32_e32 v4, v6, v4
	v_mov_b32_dpp v6, v4 row_shr:2 row_mask:0xf bank_mask:0xf
	s_delay_alu instid0(VALU_DEP_1) | instskip(SKIP_1) | instid1(VALU_DEP_2)
	v_cndmask_b32_e32 v6, 0, v6, vcc_lo
	v_cmp_lt_u32_e32 vcc_lo, 3, v5
	v_add_nc_u32_e32 v4, v4, v6
	s_delay_alu instid0(VALU_DEP_1) | instskip(NEXT) | instid1(VALU_DEP_1)
	v_mov_b32_dpp v6, v4 row_shr:4 row_mask:0xf bank_mask:0xf
	v_cndmask_b32_e32 v6, 0, v6, vcc_lo
	v_cmp_lt_u32_e32 vcc_lo, 7, v5
	s_delay_alu instid0(VALU_DEP_2) | instskip(NEXT) | instid1(VALU_DEP_1)
	v_add_nc_u32_e32 v4, v4, v6
	v_mov_b32_dpp v6, v4 row_shr:8 row_mask:0xf bank_mask:0xf
	s_delay_alu instid0(VALU_DEP_1) | instskip(SKIP_1) | instid1(VALU_DEP_2)
	v_cndmask_b32_e32 v5, 0, v6, vcc_lo
	v_bfe_i32 v6, v3, 4, 1
	v_add_nc_u32_e32 v4, v4, v5
	ds_swizzle_b32 v5, v4 offset:swizzle(BROADCAST,32,15)
	s_waitcnt lgkmcnt(0)
	v_and_b32_e32 v5, v6, v5
	v_lshrrev_b32_e32 v6, 5, v0
	s_delay_alu instid0(VALU_DEP_2)
	v_add_nc_u32_e32 v5, v4, v5
	v_cmpx_eq_u32_e64 v7, v0
	s_cbranch_execz .LBB7_2
; %bb.1:
	s_delay_alu instid0(VALU_DEP_3)
	v_lshlrev_b32_e32 v4, 2, v6
	ds_store_b32 v4, v5
.LBB7_2:
	s_or_b32 exec_lo, exec_lo, s0
	v_lshlrev_b32_e32 v4, 2, v0
	s_mov_b32 s0, exec_lo
	s_waitcnt vmcnt(0) lgkmcnt(0)
	s_barrier
	buffer_gl0_inv
	v_cmpx_gt_u32_e32 8, v0
	s_cbranch_execz .LBB7_4
; %bb.3:
	ds_load_b32 v7, v4
	s_waitcnt lgkmcnt(0)
	v_mov_b32_dpp v9, v7 row_shr:1 row_mask:0xf bank_mask:0xf
	v_and_b32_e32 v8, 7, v3
	s_delay_alu instid0(VALU_DEP_1) | instskip(NEXT) | instid1(VALU_DEP_3)
	v_cmp_ne_u32_e32 vcc_lo, 0, v8
	v_cndmask_b32_e32 v9, 0, v9, vcc_lo
	v_cmp_lt_u32_e32 vcc_lo, 1, v8
	s_delay_alu instid0(VALU_DEP_2) | instskip(NEXT) | instid1(VALU_DEP_1)
	v_add_nc_u32_e32 v7, v9, v7
	v_mov_b32_dpp v9, v7 row_shr:2 row_mask:0xf bank_mask:0xf
	s_delay_alu instid0(VALU_DEP_1) | instskip(SKIP_1) | instid1(VALU_DEP_2)
	v_cndmask_b32_e32 v9, 0, v9, vcc_lo
	v_cmp_lt_u32_e32 vcc_lo, 3, v8
	v_add_nc_u32_e32 v7, v7, v9
	s_delay_alu instid0(VALU_DEP_1) | instskip(NEXT) | instid1(VALU_DEP_1)
	v_mov_b32_dpp v9, v7 row_shr:4 row_mask:0xf bank_mask:0xf
	v_cndmask_b32_e32 v8, 0, v9, vcc_lo
	s_delay_alu instid0(VALU_DEP_1)
	v_add_nc_u32_e32 v7, v7, v8
	ds_store_b32 v4, v7
.LBB7_4:
	s_or_b32 exec_lo, exec_lo, s0
	v_dual_mov_b32 v8, 0 :: v_dual_mov_b32 v7, 0
	s_mov_b32 s0, exec_lo
	s_waitcnt lgkmcnt(0)
	s_barrier
	buffer_gl0_inv
	v_cmpx_lt_u32_e32 31, v0
	s_cbranch_execz .LBB7_6
; %bb.5:
	v_lshl_add_u32 v6, v6, 2, -4
	ds_load_b32 v7, v6
.LBB7_6:
	s_or_b32 exec_lo, exec_lo, s0
	v_add_nc_u32_e32 v6, -1, v3
	ds_load_b32 v8, v8 offset:28
	v_cmp_eq_u32_e64 s0, 0, v3
	s_mov_b32 s15, 0
	s_waitcnt lgkmcnt(0)
	v_cmp_gt_i32_e32 vcc_lo, 0, v6
	s_barrier
	buffer_gl0_inv
	v_dual_cndmask_b32 v6, v6, v3 :: v_dual_add_nc_u32 v5, v7, v5
	s_delay_alu instid0(VALU_DEP_1)
	v_lshlrev_b32_e32 v6, 2, v6
	ds_bpermute_b32 v5, v6, v5
	v_cmp_eq_u32_e32 vcc_lo, 0, v8
	v_lshlrev_b32_e32 v6, 1, v0
	v_readfirstlane_b32 s16, v8
	s_and_b32 vcc_lo, exec_lo, vcc_lo
	s_waitcnt lgkmcnt(0)
	v_cndmask_b32_e64 v3, v5, v7, s0
	ds_store_b16 v6, v2
	ds_store_b32 v4, v3 offset:512
	s_waitcnt lgkmcnt(0)
	s_barrier
	buffer_gl0_inv
	s_cbranch_vccnz .LBB7_91
; %bb.7:
	v_mul_lo_u32 v1, v1, 14
	v_mov_b32_e32 v2, 0
	v_mul_u32_u24_e32 v0, 14, v0
	s_mov_b32 s17, s16
	s_mov_b32 s14, s15
	s_delay_alu instid0(VALU_DEP_3)
	v_dual_mov_b32 v22, 0x80 :: v_dual_add_nc_u32 v7, 3, v1
	ds_load_b32 v4, v2 offset:1024
	v_lshlrev_b64 v[11:12], 1, v[1:2]
	v_lshlrev_b64 v[2:3], 2, v[1:2]
	v_or_b32_e32 v5, 1, v1
	v_add_nc_u32_e32 v6, 2, v1
	v_add_nc_u32_e32 v8, 4, v1
	;; [unrolled: 1-line block ×3, first 2 shown]
	v_add_co_u32 v11, vcc_lo, s4, v11
	v_add_co_ci_u32_e32 v12, vcc_lo, s5, v12, vcc_lo
	v_add_co_u32 v20, vcc_lo, s6, v2
	v_add_nc_u32_e32 v10, 6, v1
	v_add_nc_u32_e32 v13, 7, v1
	;; [unrolled: 1-line block ×8, first 2 shown]
	v_add_co_ci_u32_e32 v21, vcc_lo, s7, v3, vcc_lo
	s_branch .LBB7_9
.LBB7_8:                                ;   in Loop: Header=BB7_9 Depth=1
	s_or_b32 exec_lo, exec_lo, s0
	s_addk_i32 s14, 0xe00
	s_addk_i32 s17, 0xf200
	s_cmp_lt_u32 s14, s16
	s_cbranch_scc0 .LBB7_91
.LBB7_9:                                ; =>This Inner Loop Header: Depth=1
	v_add_nc_u32_e32 v27, s14, v0
	s_waitcnt lgkmcnt(0)
	s_delay_alu instid0(VALU_DEP_1) | instskip(SKIP_2) | instid1(VALU_DEP_2)
	v_cmp_gt_u32_e32 vcc_lo, v4, v27
	v_cndmask_b32_e64 v3, 0xc0, 64, vcc_lo
	v_cndmask_b32_e64 v2, 0x81, 0, vcc_lo
	v_dual_cndmask_b32 v24, 0x100, v22 :: v_dual_lshlrev_b32 v23, 2, v3
	v_or_b32_e32 v25, 1, v3
	ds_load_b32 v23, v23 offset:512
	s_waitcnt lgkmcnt(0)
	v_cmp_gt_u32_e32 vcc_lo, v23, v27
	v_dual_cndmask_b32 v2, v25, v2 :: v_dual_cndmask_b32 v3, v24, v3
	s_delay_alu instid0(VALU_DEP_1) | instskip(NEXT) | instid1(VALU_DEP_1)
	v_sub_nc_u32_e32 v23, v3, v2
	v_lshrrev_b16 v24, 15, v23
	s_delay_alu instid0(VALU_DEP_1) | instskip(NEXT) | instid1(VALU_DEP_1)
	v_add_nc_u16 v23, v23, v24
	v_ashrrev_i16 v23, 1, v23
	s_delay_alu instid0(VALU_DEP_1) | instskip(NEXT) | instid1(VALU_DEP_1)
	v_bfe_i32 v23, v23, 0, 16
	v_add_nc_u32_e32 v23, v2, v23
	s_delay_alu instid0(VALU_DEP_1) | instskip(NEXT) | instid1(VALU_DEP_1)
	v_min_i32_e32 v23, 0xff, v23
	v_lshlrev_b32_e32 v24, 2, v23
	v_add_nc_u32_e32 v25, 1, v23
	ds_load_b32 v24, v24 offset:512
	s_waitcnt lgkmcnt(0)
	v_cmp_gt_u32_e32 vcc_lo, v24, v27
	v_dual_cndmask_b32 v2, v25, v2 :: v_dual_cndmask_b32 v3, v3, v23
	s_delay_alu instid0(VALU_DEP_1) | instskip(NEXT) | instid1(VALU_DEP_1)
	v_sub_nc_u32_e32 v23, v3, v2
	v_lshrrev_b16 v24, 15, v23
	s_delay_alu instid0(VALU_DEP_1) | instskip(NEXT) | instid1(VALU_DEP_1)
	v_add_nc_u16 v23, v23, v24
	v_ashrrev_i16 v23, 1, v23
	s_delay_alu instid0(VALU_DEP_1) | instskip(NEXT) | instid1(VALU_DEP_1)
	v_bfe_i32 v23, v23, 0, 16
	v_add_nc_u32_e32 v23, v2, v23
	s_delay_alu instid0(VALU_DEP_1) | instskip(NEXT) | instid1(VALU_DEP_1)
	v_min_i32_e32 v23, 0xff, v23
	v_lshlrev_b32_e32 v24, 2, v23
	v_add_nc_u32_e32 v25, 1, v23
	;; [unrolled: 17-line block ×6, first 2 shown]
	ds_load_b32 v24, v24 offset:512
	s_waitcnt lgkmcnt(0)
	v_cmp_gt_u32_e32 vcc_lo, v24, v27
	v_add_nc_u32_e32 v24, 1, v27
	v_dual_cndmask_b32 v2, v25, v2 :: v_dual_cndmask_b32 v3, v3, v23
	s_delay_alu instid0(VALU_DEP_1) | instskip(NEXT) | instid1(VALU_DEP_1)
	v_sub_nc_u32_e32 v3, v3, v2
	v_lshrrev_b16 v23, 15, v3
	s_delay_alu instid0(VALU_DEP_1) | instskip(NEXT) | instid1(VALU_DEP_1)
	v_add_nc_u16 v3, v3, v23
	v_ashrrev_i16 v3, 1, v3
	s_delay_alu instid0(VALU_DEP_1) | instskip(NEXT) | instid1(VALU_DEP_1)
	v_bfe_i32 v3, v3, 0, 16
	v_add_nc_u32_e32 v3, v2, v3
	s_delay_alu instid0(VALU_DEP_1) | instskip(NEXT) | instid1(VALU_DEP_1)
	v_min_i32_e32 v3, 0xff, v3
	v_lshlrev_b32_e32 v23, 2, v3
	v_add_nc_u32_e32 v3, 1, v3
	ds_load_b32 v23, v23 offset:512
	s_waitcnt lgkmcnt(0)
	v_cmp_gt_u32_e32 vcc_lo, v23, v27
	v_cndmask_b32_e32 v40, v3, v2, vcc_lo
	s_delay_alu instid0(VALU_DEP_1)
	v_lshlrev_b32_e32 v25, 2, v40
	v_lshl_add_u32 v23, v40, 1, -2
	ds_load_2addr_b32 v[2:3], v25 offset0:127 offset1:128
	ds_load_u16 v32, v23
	s_waitcnt lgkmcnt(1)
	v_sub_nc_u32_e32 v23, v27, v2
	v_cmp_eq_u32_e32 vcc_lo, v24, v3
	s_waitcnt lgkmcnt(0)
	s_delay_alu instid0(VALU_DEP_2)
	v_dual_mov_b32 v33, v32 :: v_dual_mov_b32 v24, v23
	s_and_saveexec_b32 s0, vcc_lo
	s_cbranch_execz .LBB7_11
; %bb.10:                               ;   in Loop: Header=BB7_9 Depth=1
	v_lshlrev_b32_e32 v2, 1, v40
	v_add_nc_u32_e32 v40, 1, v40
	v_sub_nc_u32_e32 v24, v27, v3
	ds_load_b32 v25, v25 offset:516
	ds_load_u16 v33, v2
	s_waitcnt lgkmcnt(1)
	v_mov_b32_e32 v3, v25
.LBB7_11:                               ;   in Loop: Header=BB7_9 Depth=1
	s_or_b32 exec_lo, exec_lo, s0
	s_delay_alu instid0(VALU_DEP_1) | instskip(SKIP_3) | instid1(VALU_DEP_2)
	v_dual_mov_b32 v25, v24 :: v_dual_add_nc_u32 v2, 2, v27
	s_waitcnt lgkmcnt(0)
	v_mov_b32_e32 v35, v33
	s_mov_b32 s0, exec_lo
	v_cmpx_eq_u32_e64 v2, v3
	s_cbranch_execz .LBB7_13
; %bb.12:                               ;   in Loop: Header=BB7_9 Depth=1
	v_add_nc_u32_e32 v2, 1, v40
	v_lshlrev_b32_e32 v26, 1, v40
	s_delay_alu instid0(VALU_DEP_2)
	v_lshlrev_b32_e32 v25, 2, v2
	ds_load_b32 v28, v25 offset:512
	ds_load_u16 v35, v26
	v_sub_nc_u32_e32 v25, v27, v3
	s_waitcnt lgkmcnt(1)
	v_dual_mov_b32 v3, v28 :: v_dual_mov_b32 v40, v2
.LBB7_13:                               ;   in Loop: Header=BB7_9 Depth=1
	s_or_b32 exec_lo, exec_lo, s0
	s_waitcnt lgkmcnt(0)
	v_dual_mov_b32 v37, v35 :: v_dual_add_nc_u32 v2, 3, v27
	v_mov_b32_e32 v26, v25
	s_mov_b32 s0, exec_lo
	s_delay_alu instid0(VALU_DEP_2)
	v_cmpx_eq_u32_e64 v2, v3
	s_cbranch_execz .LBB7_15
; %bb.14:                               ;   in Loop: Header=BB7_9 Depth=1
	v_lshlrev_b32_e32 v2, 2, v40
	v_lshlrev_b32_e32 v26, 1, v40
	v_add_nc_u32_e32 v40, 1, v40
	ds_load_2addr_b32 v[2:3], v2 offset0:128 offset1:129
	ds_load_u16 v37, v26
	s_waitcnt lgkmcnt(1)
	v_sub_nc_u32_e32 v26, v27, v2
.LBB7_15:                               ;   in Loop: Header=BB7_9 Depth=1
	s_or_b32 exec_lo, exec_lo, s0
	s_waitcnt lgkmcnt(0)
	v_dual_mov_b32 v39, v37 :: v_dual_add_nc_u32 v2, 4, v27
	s_delay_alu instid0(VALU_DEP_2) | instskip(SKIP_1) | instid1(VALU_DEP_2)
	v_mov_b32_e32 v28, v26
	s_mov_b32 s0, exec_lo
	v_cmpx_eq_u32_e64 v2, v3
	s_cbranch_execz .LBB7_17
; %bb.16:                               ;   in Loop: Header=BB7_9 Depth=1
	v_lshlrev_b32_e32 v2, 2, v40
	v_lshlrev_b32_e32 v28, 1, v40
	v_add_nc_u32_e32 v40, 1, v40
	ds_load_2addr_b32 v[2:3], v2 offset0:128 offset1:129
	ds_load_u16 v39, v28
	s_waitcnt lgkmcnt(1)
	v_sub_nc_u32_e32 v28, v27, v2
.LBB7_17:                               ;   in Loop: Header=BB7_9 Depth=1
	s_or_b32 exec_lo, exec_lo, s0
	s_delay_alu instid0(VALU_DEP_1) | instskip(SKIP_3) | instid1(VALU_DEP_2)
	v_dual_mov_b32 v29, v28 :: v_dual_add_nc_u32 v2, 5, v27
	s_waitcnt lgkmcnt(0)
	v_mov_b32_e32 v42, v39
	s_mov_b32 s0, exec_lo
	v_cmpx_eq_u32_e64 v2, v3
	s_cbranch_execz .LBB7_19
; %bb.18:                               ;   in Loop: Header=BB7_9 Depth=1
	v_lshlrev_b32_e32 v2, 2, v40
	v_lshlrev_b32_e32 v29, 1, v40
	v_add_nc_u32_e32 v40, 1, v40
	ds_load_2addr_b32 v[2:3], v2 offset0:128 offset1:129
	ds_load_u16 v42, v29
	s_waitcnt lgkmcnt(1)
	v_sub_nc_u32_e32 v29, v27, v2
.LBB7_19:                               ;   in Loop: Header=BB7_9 Depth=1
	s_or_b32 exec_lo, exec_lo, s0
	v_add_nc_u32_e32 v2, 6, v27
	s_delay_alu instid0(VALU_DEP_2)
	v_mov_b32_e32 v30, v29
	s_waitcnt lgkmcnt(0)
	v_mov_b32_e32 v44, v42
	s_mov_b32 s0, exec_lo
	v_cmpx_eq_u32_e64 v2, v3
	s_cbranch_execz .LBB7_21
; %bb.20:                               ;   in Loop: Header=BB7_9 Depth=1
	v_lshlrev_b32_e32 v2, 2, v40
	v_lshlrev_b32_e32 v30, 1, v40
	v_add_nc_u32_e32 v40, 1, v40
	ds_load_2addr_b32 v[2:3], v2 offset0:128 offset1:129
	ds_load_u16 v44, v30
	s_waitcnt lgkmcnt(1)
	v_sub_nc_u32_e32 v30, v27, v2
.LBB7_21:                               ;   in Loop: Header=BB7_9 Depth=1
	s_or_b32 exec_lo, exec_lo, s0
	s_delay_alu instid0(VALU_DEP_1) | instskip(SKIP_3) | instid1(VALU_DEP_2)
	v_dual_mov_b32 v31, v30 :: v_dual_add_nc_u32 v2, 7, v27
	s_waitcnt lgkmcnt(0)
	v_mov_b32_e32 v46, v44
	s_mov_b32 s0, exec_lo
	v_cmpx_eq_u32_e64 v2, v3
	s_cbranch_execz .LBB7_23
; %bb.22:                               ;   in Loop: Header=BB7_9 Depth=1
	v_lshlrev_b32_e32 v2, 2, v40
	v_lshlrev_b32_e32 v31, 1, v40
	v_add_nc_u32_e32 v40, 1, v40
	ds_load_2addr_b32 v[2:3], v2 offset0:128 offset1:129
	ds_load_u16 v46, v31
	s_waitcnt lgkmcnt(1)
	v_sub_nc_u32_e32 v31, v27, v2
.LBB7_23:                               ;   in Loop: Header=BB7_9 Depth=1
	s_or_b32 exec_lo, exec_lo, s0
	s_waitcnt lgkmcnt(0)
	v_dual_mov_b32 v47, v46 :: v_dual_add_nc_u32 v2, 8, v27
	s_delay_alu instid0(VALU_DEP_2) | instskip(SKIP_1) | instid1(VALU_DEP_2)
	v_mov_b32_e32 v34, v31
	s_mov_b32 s0, exec_lo
	v_cmpx_eq_u32_e64 v2, v3
	s_cbranch_execz .LBB7_25
; %bb.24:                               ;   in Loop: Header=BB7_9 Depth=1
	v_lshlrev_b32_e32 v2, 2, v40
	v_lshlrev_b32_e32 v34, 1, v40
	v_add_nc_u32_e32 v40, 1, v40
	ds_load_2addr_b32 v[2:3], v2 offset0:128 offset1:129
	ds_load_u16 v47, v34
	s_waitcnt lgkmcnt(1)
	v_sub_nc_u32_e32 v34, v27, v2
.LBB7_25:                               ;   in Loop: Header=BB7_9 Depth=1
	s_or_b32 exec_lo, exec_lo, s0
	v_add_nc_u32_e32 v2, 9, v27
	s_delay_alu instid0(VALU_DEP_2)
	v_mov_b32_e32 v36, v34
	s_waitcnt lgkmcnt(0)
	v_mov_b32_e32 v48, v47
	s_mov_b32 s0, exec_lo
	v_cmpx_eq_u32_e64 v2, v3
	s_cbranch_execz .LBB7_27
; %bb.26:                               ;   in Loop: Header=BB7_9 Depth=1
	v_lshlrev_b32_e32 v2, 2, v40
	v_lshlrev_b32_e32 v36, 1, v40
	v_add_nc_u32_e32 v40, 1, v40
	ds_load_2addr_b32 v[2:3], v2 offset0:128 offset1:129
	ds_load_u16 v48, v36
	s_waitcnt lgkmcnt(1)
	v_sub_nc_u32_e32 v36, v27, v2
.LBB7_27:                               ;   in Loop: Header=BB7_9 Depth=1
	s_or_b32 exec_lo, exec_lo, s0
	s_waitcnt lgkmcnt(0)
	v_dual_mov_b32 v49, v48 :: v_dual_add_nc_u32 v2, 10, v27
	s_delay_alu instid0(VALU_DEP_2) | instskip(SKIP_1) | instid1(VALU_DEP_2)
	v_mov_b32_e32 v38, v36
	s_mov_b32 s0, exec_lo
	v_cmpx_eq_u32_e64 v2, v3
	s_cbranch_execz .LBB7_29
; %bb.28:                               ;   in Loop: Header=BB7_9 Depth=1
	v_lshlrev_b32_e32 v2, 2, v40
	v_lshlrev_b32_e32 v38, 1, v40
	v_add_nc_u32_e32 v40, 1, v40
	ds_load_2addr_b32 v[2:3], v2 offset0:128 offset1:129
	ds_load_u16 v49, v38
	s_waitcnt lgkmcnt(1)
	v_sub_nc_u32_e32 v38, v27, v2
.LBB7_29:                               ;   in Loop: Header=BB7_9 Depth=1
	s_or_b32 exec_lo, exec_lo, s0
	s_delay_alu instid0(VALU_DEP_1) | instskip(SKIP_3) | instid1(VALU_DEP_2)
	v_dual_mov_b32 v41, v38 :: v_dual_add_nc_u32 v2, 11, v27
	s_waitcnt lgkmcnt(0)
	v_mov_b32_e32 v50, v49
	s_mov_b32 s0, exec_lo
	v_cmpx_eq_u32_e64 v2, v3
	s_cbranch_execz .LBB7_31
; %bb.30:                               ;   in Loop: Header=BB7_9 Depth=1
	v_lshlrev_b32_e32 v2, 2, v40
	v_lshlrev_b32_e32 v41, 1, v40
	v_add_nc_u32_e32 v40, 1, v40
	ds_load_2addr_b32 v[2:3], v2 offset0:128 offset1:129
	ds_load_u16 v50, v41
	s_waitcnt lgkmcnt(1)
	v_sub_nc_u32_e32 v41, v27, v2
.LBB7_31:                               ;   in Loop: Header=BB7_9 Depth=1
	s_or_b32 exec_lo, exec_lo, s0
	s_delay_alu instid0(VALU_DEP_1) | instskip(SKIP_3) | instid1(VALU_DEP_2)
	v_dual_mov_b32 v43, v41 :: v_dual_add_nc_u32 v2, 12, v27
	s_waitcnt lgkmcnt(0)
	;; [unrolled: 17-line block ×3, first 2 shown]
	v_mov_b32_e32 v52, v51
	s_mov_b32 s0, exec_lo
	v_cmpx_eq_u32_e64 v2, v3
	s_cbranch_execz .LBB7_35
; %bb.34:                               ;   in Loop: Header=BB7_9 Depth=1
	v_lshlrev_b32_e32 v2, 2, v40
	v_lshlrev_b32_e32 v3, 1, v40
	ds_load_b32 v2, v2 offset:512
	ds_load_u16 v52, v3
	s_waitcnt lgkmcnt(1)
	v_sub_nc_u32_e32 v45, v27, v2
.LBB7_35:                               ;   in Loop: Header=BB7_9 Depth=1
	s_or_b32 exec_lo, exec_lo, s0
	s_lshl_b64 s[0:1], s[14:15], 1
	s_min_u32 s12, s17, 0xe00
	v_add_co_u32 v2, vcc_lo, v11, s0
	v_add_co_ci_u32_e32 v3, vcc_lo, s1, v12, vcc_lo
	v_cmp_gt_u32_e32 vcc_lo, s12, v1
	s_and_saveexec_b32 s0, vcc_lo
	s_cbranch_execnz .LBB7_64
; %bb.36:                               ;   in Loop: Header=BB7_9 Depth=1
	s_or_b32 exec_lo, exec_lo, s0
	v_cmp_gt_u32_e64 s0, s12, v5
	s_delay_alu instid0(VALU_DEP_1)
	s_and_saveexec_b32 s1, s0
	s_cbranch_execnz .LBB7_65
.LBB7_37:                               ;   in Loop: Header=BB7_9 Depth=1
	s_or_b32 exec_lo, exec_lo, s1
	v_cmp_gt_u32_e64 s1, s12, v6
	s_delay_alu instid0(VALU_DEP_1)
	s_and_saveexec_b32 s2, s1
	s_cbranch_execnz .LBB7_66
.LBB7_38:                               ;   in Loop: Header=BB7_9 Depth=1
	s_or_b32 exec_lo, exec_lo, s2
	v_cmp_gt_u32_e64 s2, s12, v7
	s_delay_alu instid0(VALU_DEP_1)
	s_and_saveexec_b32 s3, s2
	s_cbranch_execnz .LBB7_67
.LBB7_39:                               ;   in Loop: Header=BB7_9 Depth=1
	s_or_b32 exec_lo, exec_lo, s3
	v_cmp_gt_u32_e64 s3, s12, v8
	s_delay_alu instid0(VALU_DEP_1)
	s_and_saveexec_b32 s4, s3
	s_cbranch_execnz .LBB7_68
.LBB7_40:                               ;   in Loop: Header=BB7_9 Depth=1
	s_or_b32 exec_lo, exec_lo, s4
	v_cmp_gt_u32_e64 s4, s12, v9
	s_delay_alu instid0(VALU_DEP_1)
	s_and_saveexec_b32 s5, s4
	s_cbranch_execnz .LBB7_69
.LBB7_41:                               ;   in Loop: Header=BB7_9 Depth=1
	s_or_b32 exec_lo, exec_lo, s5
	v_cmp_gt_u32_e64 s5, s12, v10
	s_delay_alu instid0(VALU_DEP_1)
	s_and_saveexec_b32 s6, s5
	s_cbranch_execnz .LBB7_70
.LBB7_42:                               ;   in Loop: Header=BB7_9 Depth=1
	s_or_b32 exec_lo, exec_lo, s6
	v_cmp_gt_u32_e64 s6, s12, v13
	s_delay_alu instid0(VALU_DEP_1)
	s_and_saveexec_b32 s7, s6
	s_cbranch_execnz .LBB7_71
.LBB7_43:                               ;   in Loop: Header=BB7_9 Depth=1
	s_or_b32 exec_lo, exec_lo, s7
	v_cmp_gt_u32_e64 s7, s12, v14
	s_delay_alu instid0(VALU_DEP_1)
	s_and_saveexec_b32 s8, s7
	s_cbranch_execnz .LBB7_72
.LBB7_44:                               ;   in Loop: Header=BB7_9 Depth=1
	s_or_b32 exec_lo, exec_lo, s8
	v_cmp_gt_u32_e64 s8, s12, v15
	s_delay_alu instid0(VALU_DEP_1)
	s_and_saveexec_b32 s9, s8
	s_cbranch_execnz .LBB7_73
.LBB7_45:                               ;   in Loop: Header=BB7_9 Depth=1
	s_or_b32 exec_lo, exec_lo, s9
	v_cmp_gt_u32_e64 s9, s12, v16
	s_delay_alu instid0(VALU_DEP_1)
	s_and_saveexec_b32 s10, s9
	s_cbranch_execnz .LBB7_74
.LBB7_46:                               ;   in Loop: Header=BB7_9 Depth=1
	s_or_b32 exec_lo, exec_lo, s10
	v_cmp_gt_u32_e64 s10, s12, v17
	s_delay_alu instid0(VALU_DEP_1)
	s_and_saveexec_b32 s11, s10
	s_cbranch_execnz .LBB7_75
.LBB7_47:                               ;   in Loop: Header=BB7_9 Depth=1
	s_or_b32 exec_lo, exec_lo, s11
	v_cmp_gt_u32_e64 s11, s12, v18
	s_delay_alu instid0(VALU_DEP_1)
	s_and_saveexec_b32 s13, s11
	s_cbranch_execnz .LBB7_76
.LBB7_48:                               ;   in Loop: Header=BB7_9 Depth=1
	s_or_b32 exec_lo, exec_lo, s13
	v_cmp_gt_u32_e64 s12, s12, v19
	s_delay_alu instid0(VALU_DEP_1)
	s_and_saveexec_b32 s13, s12
	s_cbranch_execz .LBB7_50
.LBB7_49:                               ;   in Loop: Header=BB7_9 Depth=1
	s_waitcnt lgkmcnt(0)
	global_store_b16 v[2:3], v52, off offset:26
.LBB7_50:                               ;   in Loop: Header=BB7_9 Depth=1
	s_or_b32 exec_lo, exec_lo, s13
	s_lshl_b64 s[18:19], s[14:15], 2
	s_delay_alu instid0(SALU_CYCLE_1) | instskip(NEXT) | instid1(VALU_DEP_1)
	v_add_co_u32 v2, s13, v20, s18
	v_add_co_ci_u32_e64 v3, s13, s19, v21, s13
	s_and_saveexec_b32 s13, vcc_lo
	s_cbranch_execnz .LBB7_77
; %bb.51:                               ;   in Loop: Header=BB7_9 Depth=1
	s_or_b32 exec_lo, exec_lo, s13
	s_and_saveexec_b32 s13, s0
	s_cbranch_execnz .LBB7_78
.LBB7_52:                               ;   in Loop: Header=BB7_9 Depth=1
	s_or_b32 exec_lo, exec_lo, s13
	s_and_saveexec_b32 s0, s1
	s_cbranch_execnz .LBB7_79
.LBB7_53:                               ;   in Loop: Header=BB7_9 Depth=1
	s_or_b32 exec_lo, exec_lo, s0
	s_and_saveexec_b32 s0, s2
	s_cbranch_execnz .LBB7_80
.LBB7_54:                               ;   in Loop: Header=BB7_9 Depth=1
	s_or_b32 exec_lo, exec_lo, s0
	s_and_saveexec_b32 s0, s3
	s_cbranch_execnz .LBB7_81
.LBB7_55:                               ;   in Loop: Header=BB7_9 Depth=1
	s_or_b32 exec_lo, exec_lo, s0
	s_and_saveexec_b32 s0, s4
	s_cbranch_execnz .LBB7_82
.LBB7_56:                               ;   in Loop: Header=BB7_9 Depth=1
	s_or_b32 exec_lo, exec_lo, s0
	s_and_saveexec_b32 s0, s5
	s_cbranch_execnz .LBB7_83
.LBB7_57:                               ;   in Loop: Header=BB7_9 Depth=1
	s_or_b32 exec_lo, exec_lo, s0
	s_and_saveexec_b32 s0, s6
	s_cbranch_execnz .LBB7_84
.LBB7_58:                               ;   in Loop: Header=BB7_9 Depth=1
	s_or_b32 exec_lo, exec_lo, s0
	s_and_saveexec_b32 s0, s7
	s_cbranch_execnz .LBB7_85
.LBB7_59:                               ;   in Loop: Header=BB7_9 Depth=1
	s_or_b32 exec_lo, exec_lo, s0
	s_and_saveexec_b32 s0, s8
	s_cbranch_execnz .LBB7_86
.LBB7_60:                               ;   in Loop: Header=BB7_9 Depth=1
	s_or_b32 exec_lo, exec_lo, s0
	s_and_saveexec_b32 s0, s9
	s_cbranch_execnz .LBB7_87
.LBB7_61:                               ;   in Loop: Header=BB7_9 Depth=1
	s_or_b32 exec_lo, exec_lo, s0
	s_and_saveexec_b32 s0, s10
	s_cbranch_execnz .LBB7_88
.LBB7_62:                               ;   in Loop: Header=BB7_9 Depth=1
	s_or_b32 exec_lo, exec_lo, s0
	s_and_saveexec_b32 s0, s11
	s_cbranch_execnz .LBB7_89
.LBB7_63:                               ;   in Loop: Header=BB7_9 Depth=1
	s_or_b32 exec_lo, exec_lo, s0
	s_and_saveexec_b32 s0, s12
	s_cbranch_execz .LBB7_8
	s_branch .LBB7_90
.LBB7_64:                               ;   in Loop: Header=BB7_9 Depth=1
	global_store_b16 v[2:3], v32, off
	s_or_b32 exec_lo, exec_lo, s0
	v_cmp_gt_u32_e64 s0, s12, v5
	s_delay_alu instid0(VALU_DEP_1)
	s_and_saveexec_b32 s1, s0
	s_cbranch_execz .LBB7_37
.LBB7_65:                               ;   in Loop: Header=BB7_9 Depth=1
	global_store_b16 v[2:3], v33, off offset:2
	s_or_b32 exec_lo, exec_lo, s1
	v_cmp_gt_u32_e64 s1, s12, v6
	s_delay_alu instid0(VALU_DEP_1)
	s_and_saveexec_b32 s2, s1
	s_cbranch_execz .LBB7_38
.LBB7_66:                               ;   in Loop: Header=BB7_9 Depth=1
	global_store_b16 v[2:3], v35, off offset:4
	s_or_b32 exec_lo, exec_lo, s2
	v_cmp_gt_u32_e64 s2, s12, v7
	s_delay_alu instid0(VALU_DEP_1)
	s_and_saveexec_b32 s3, s2
	s_cbranch_execz .LBB7_39
.LBB7_67:                               ;   in Loop: Header=BB7_9 Depth=1
	global_store_b16 v[2:3], v37, off offset:6
	s_or_b32 exec_lo, exec_lo, s3
	v_cmp_gt_u32_e64 s3, s12, v8
	s_delay_alu instid0(VALU_DEP_1)
	s_and_saveexec_b32 s4, s3
	s_cbranch_execz .LBB7_40
.LBB7_68:                               ;   in Loop: Header=BB7_9 Depth=1
	global_store_b16 v[2:3], v39, off offset:8
	s_or_b32 exec_lo, exec_lo, s4
	v_cmp_gt_u32_e64 s4, s12, v9
	s_delay_alu instid0(VALU_DEP_1)
	s_and_saveexec_b32 s5, s4
	s_cbranch_execz .LBB7_41
.LBB7_69:                               ;   in Loop: Header=BB7_9 Depth=1
	global_store_b16 v[2:3], v42, off offset:10
	s_or_b32 exec_lo, exec_lo, s5
	v_cmp_gt_u32_e64 s5, s12, v10
	s_delay_alu instid0(VALU_DEP_1)
	s_and_saveexec_b32 s6, s5
	s_cbranch_execz .LBB7_42
.LBB7_70:                               ;   in Loop: Header=BB7_9 Depth=1
	global_store_b16 v[2:3], v44, off offset:12
	s_or_b32 exec_lo, exec_lo, s6
	v_cmp_gt_u32_e64 s6, s12, v13
	s_delay_alu instid0(VALU_DEP_1)
	s_and_saveexec_b32 s7, s6
	s_cbranch_execz .LBB7_43
.LBB7_71:                               ;   in Loop: Header=BB7_9 Depth=1
	global_store_b16 v[2:3], v46, off offset:14
	s_or_b32 exec_lo, exec_lo, s7
	v_cmp_gt_u32_e64 s7, s12, v14
	s_delay_alu instid0(VALU_DEP_1)
	s_and_saveexec_b32 s8, s7
	s_cbranch_execz .LBB7_44
.LBB7_72:                               ;   in Loop: Header=BB7_9 Depth=1
	global_store_b16 v[2:3], v47, off offset:16
	s_or_b32 exec_lo, exec_lo, s8
	v_cmp_gt_u32_e64 s8, s12, v15
	s_delay_alu instid0(VALU_DEP_1)
	s_and_saveexec_b32 s9, s8
	s_cbranch_execz .LBB7_45
.LBB7_73:                               ;   in Loop: Header=BB7_9 Depth=1
	global_store_b16 v[2:3], v48, off offset:18
	s_or_b32 exec_lo, exec_lo, s9
	v_cmp_gt_u32_e64 s9, s12, v16
	s_delay_alu instid0(VALU_DEP_1)
	s_and_saveexec_b32 s10, s9
	s_cbranch_execz .LBB7_46
.LBB7_74:                               ;   in Loop: Header=BB7_9 Depth=1
	global_store_b16 v[2:3], v49, off offset:20
	s_or_b32 exec_lo, exec_lo, s10
	v_cmp_gt_u32_e64 s10, s12, v17
	s_delay_alu instid0(VALU_DEP_1)
	s_and_saveexec_b32 s11, s10
	s_cbranch_execz .LBB7_47
.LBB7_75:                               ;   in Loop: Header=BB7_9 Depth=1
	global_store_b16 v[2:3], v50, off offset:22
	s_or_b32 exec_lo, exec_lo, s11
	v_cmp_gt_u32_e64 s11, s12, v18
	s_delay_alu instid0(VALU_DEP_1)
	s_and_saveexec_b32 s13, s11
	s_cbranch_execz .LBB7_48
.LBB7_76:                               ;   in Loop: Header=BB7_9 Depth=1
	global_store_b16 v[2:3], v51, off offset:24
	s_or_b32 exec_lo, exec_lo, s13
	v_cmp_gt_u32_e64 s12, s12, v19
	s_delay_alu instid0(VALU_DEP_1)
	s_and_saveexec_b32 s13, s12
	s_cbranch_execnz .LBB7_49
	s_branch .LBB7_50
.LBB7_77:                               ;   in Loop: Header=BB7_9 Depth=1
	global_store_b32 v[2:3], v23, off
	s_or_b32 exec_lo, exec_lo, s13
	s_and_saveexec_b32 s13, s0
	s_cbranch_execz .LBB7_52
.LBB7_78:                               ;   in Loop: Header=BB7_9 Depth=1
	v_add_nc_u32_e32 v23, 1, v24
	global_store_b32 v[2:3], v23, off offset:4
	s_or_b32 exec_lo, exec_lo, s13
	s_and_saveexec_b32 s0, s1
	s_cbranch_execz .LBB7_53
.LBB7_79:                               ;   in Loop: Header=BB7_9 Depth=1
	v_add_nc_u32_e32 v23, 2, v25
	global_store_b32 v[2:3], v23, off offset:8
	s_or_b32 exec_lo, exec_lo, s0
	s_and_saveexec_b32 s0, s2
	s_cbranch_execz .LBB7_54
.LBB7_80:                               ;   in Loop: Header=BB7_9 Depth=1
	v_add_nc_u32_e32 v23, 3, v26
	global_store_b32 v[2:3], v23, off offset:12
	s_or_b32 exec_lo, exec_lo, s0
	s_and_saveexec_b32 s0, s3
	s_cbranch_execz .LBB7_55
.LBB7_81:                               ;   in Loop: Header=BB7_9 Depth=1
	v_add_nc_u32_e32 v23, 4, v28
	global_store_b32 v[2:3], v23, off offset:16
	s_or_b32 exec_lo, exec_lo, s0
	s_and_saveexec_b32 s0, s4
	s_cbranch_execz .LBB7_56
.LBB7_82:                               ;   in Loop: Header=BB7_9 Depth=1
	v_add_nc_u32_e32 v23, 5, v29
	global_store_b32 v[2:3], v23, off offset:20
	s_or_b32 exec_lo, exec_lo, s0
	s_and_saveexec_b32 s0, s5
	s_cbranch_execz .LBB7_57
.LBB7_83:                               ;   in Loop: Header=BB7_9 Depth=1
	v_add_nc_u32_e32 v23, 6, v30
	global_store_b32 v[2:3], v23, off offset:24
	s_or_b32 exec_lo, exec_lo, s0
	s_and_saveexec_b32 s0, s6
	s_cbranch_execz .LBB7_58
.LBB7_84:                               ;   in Loop: Header=BB7_9 Depth=1
	v_add_nc_u32_e32 v23, 7, v31
	global_store_b32 v[2:3], v23, off offset:28
	s_or_b32 exec_lo, exec_lo, s0
	s_and_saveexec_b32 s0, s7
	s_cbranch_execz .LBB7_59
.LBB7_85:                               ;   in Loop: Header=BB7_9 Depth=1
	v_add_nc_u32_e32 v23, 8, v34
	global_store_b32 v[2:3], v23, off offset:32
	s_or_b32 exec_lo, exec_lo, s0
	s_and_saveexec_b32 s0, s8
	s_cbranch_execz .LBB7_60
.LBB7_86:                               ;   in Loop: Header=BB7_9 Depth=1
	v_add_nc_u32_e32 v23, 9, v36
	global_store_b32 v[2:3], v23, off offset:36
	s_or_b32 exec_lo, exec_lo, s0
	s_and_saveexec_b32 s0, s9
	s_cbranch_execz .LBB7_61
.LBB7_87:                               ;   in Loop: Header=BB7_9 Depth=1
	v_add_nc_u32_e32 v23, 10, v38
	global_store_b32 v[2:3], v23, off offset:40
	s_or_b32 exec_lo, exec_lo, s0
	s_and_saveexec_b32 s0, s10
	s_cbranch_execz .LBB7_62
.LBB7_88:                               ;   in Loop: Header=BB7_9 Depth=1
	v_add_nc_u32_e32 v23, 11, v41
	global_store_b32 v[2:3], v23, off offset:44
	s_or_b32 exec_lo, exec_lo, s0
	s_and_saveexec_b32 s0, s11
	s_cbranch_execz .LBB7_63
.LBB7_89:                               ;   in Loop: Header=BB7_9 Depth=1
	v_add_nc_u32_e32 v23, 12, v43
	global_store_b32 v[2:3], v23, off offset:48
	s_or_b32 exec_lo, exec_lo, s0
	s_and_saveexec_b32 s0, s12
	s_cbranch_execz .LBB7_8
.LBB7_90:                               ;   in Loop: Header=BB7_9 Depth=1
	v_add_nc_u32_e32 v23, 13, v45
	global_store_b32 v[2:3], v23, off offset:52
	s_branch .LBB7_8
.LBB7_91:
	s_nop 0
	s_sendmsg sendmsg(MSG_DEALLOC_VGPRS)
	s_endpgm
	.section	.rodata,"a",@progbits
	.p2align	6, 0x0
	.amdhsa_kernel _Z30block_run_length_decode_kernelI6__halfiLj256ELj1ELj14EEvPKT_PKT0_PS1_PS4_
		.amdhsa_group_segment_fixed_size 1536
		.amdhsa_private_segment_fixed_size 0
		.amdhsa_kernarg_size 32
		.amdhsa_user_sgpr_count 15
		.amdhsa_user_sgpr_dispatch_ptr 0
		.amdhsa_user_sgpr_queue_ptr 0
		.amdhsa_user_sgpr_kernarg_segment_ptr 1
		.amdhsa_user_sgpr_dispatch_id 0
		.amdhsa_user_sgpr_private_segment_size 0
		.amdhsa_wavefront_size32 1
		.amdhsa_uses_dynamic_stack 0
		.amdhsa_enable_private_segment 0
		.amdhsa_system_sgpr_workgroup_id_x 1
		.amdhsa_system_sgpr_workgroup_id_y 0
		.amdhsa_system_sgpr_workgroup_id_z 0
		.amdhsa_system_sgpr_workgroup_info 0
		.amdhsa_system_vgpr_workitem_id 0
		.amdhsa_next_free_vgpr 53
		.amdhsa_next_free_sgpr 20
		.amdhsa_reserve_vcc 1
		.amdhsa_float_round_mode_32 0
		.amdhsa_float_round_mode_16_64 0
		.amdhsa_float_denorm_mode_32 3
		.amdhsa_float_denorm_mode_16_64 3
		.amdhsa_dx10_clamp 1
		.amdhsa_ieee_mode 1
		.amdhsa_fp16_overflow 0
		.amdhsa_workgroup_processor_mode 1
		.amdhsa_memory_ordered 1
		.amdhsa_forward_progress 0
		.amdhsa_shared_vgpr_count 0
		.amdhsa_exception_fp_ieee_invalid_op 0
		.amdhsa_exception_fp_denorm_src 0
		.amdhsa_exception_fp_ieee_div_zero 0
		.amdhsa_exception_fp_ieee_overflow 0
		.amdhsa_exception_fp_ieee_underflow 0
		.amdhsa_exception_fp_ieee_inexact 0
		.amdhsa_exception_int_div_zero 0
	.end_amdhsa_kernel
	.section	.text._Z30block_run_length_decode_kernelI6__halfiLj256ELj1ELj14EEvPKT_PKT0_PS1_PS4_,"axG",@progbits,_Z30block_run_length_decode_kernelI6__halfiLj256ELj1ELj14EEvPKT_PKT0_PS1_PS4_,comdat
.Lfunc_end7:
	.size	_Z30block_run_length_decode_kernelI6__halfiLj256ELj1ELj14EEvPKT_PKT0_PS1_PS4_, .Lfunc_end7-_Z30block_run_length_decode_kernelI6__halfiLj256ELj1ELj14EEvPKT_PKT0_PS1_PS4_
                                        ; -- End function
	.section	.AMDGPU.csdata,"",@progbits
; Kernel info:
; codeLenInByte = 3868
; NumSgprs: 22
; NumVgprs: 53
; ScratchSize: 0
; MemoryBound: 0
; FloatMode: 240
; IeeeMode: 1
; LDSByteSize: 1536 bytes/workgroup (compile time only)
; SGPRBlocks: 2
; VGPRBlocks: 6
; NumSGPRsForWavesPerEU: 22
; NumVGPRsForWavesPerEU: 53
; Occupancy: 16
; WaveLimiterHint : 0
; COMPUTE_PGM_RSRC2:SCRATCH_EN: 0
; COMPUTE_PGM_RSRC2:USER_SGPR: 15
; COMPUTE_PGM_RSRC2:TRAP_HANDLER: 0
; COMPUTE_PGM_RSRC2:TGID_X_EN: 1
; COMPUTE_PGM_RSRC2:TGID_Y_EN: 0
; COMPUTE_PGM_RSRC2:TGID_Z_EN: 0
; COMPUTE_PGM_RSRC2:TIDIG_COMP_CNT: 0
	.section	.text._Z30block_run_length_decode_kernelIfiLj256ELj1ELj14EEvPKT_PKT0_PS0_PS3_,"axG",@progbits,_Z30block_run_length_decode_kernelIfiLj256ELj1ELj14EEvPKT_PKT0_PS0_PS3_,comdat
	.protected	_Z30block_run_length_decode_kernelIfiLj256ELj1ELj14EEvPKT_PKT0_PS0_PS3_ ; -- Begin function _Z30block_run_length_decode_kernelIfiLj256ELj1ELj14EEvPKT_PKT0_PS0_PS3_
	.globl	_Z30block_run_length_decode_kernelIfiLj256ELj1ELj14EEvPKT_PKT0_PS0_PS3_
	.p2align	8
	.type	_Z30block_run_length_decode_kernelIfiLj256ELj1ELj14EEvPKT_PKT0_PS0_PS3_,@function
_Z30block_run_length_decode_kernelIfiLj256ELj1ELj14EEvPKT_PKT0_PS0_PS3_: ; @_Z30block_run_length_decode_kernelIfiLj256ELj1ELj14EEvPKT_PKT0_PS0_PS3_
; %bb.0:
	s_load_b256 s[0:7], s[0:1], 0x0
	v_mov_b32_e32 v2, 0
	v_lshl_or_b32 v1, s15, 8, v0
	v_or_b32_e32 v7, 31, v0
	s_delay_alu instid0(VALU_DEP_2) | instskip(SKIP_1) | instid1(VALU_DEP_1)
	v_lshlrev_b64 v[2:3], 2, v[1:2]
	s_waitcnt lgkmcnt(0)
	v_add_co_u32 v4, vcc_lo, s2, v2
	s_delay_alu instid0(VALU_DEP_2)
	v_add_co_ci_u32_e32 v5, vcc_lo, s3, v3, vcc_lo
	v_add_co_u32 v2, vcc_lo, s0, v2
	v_add_co_ci_u32_e32 v3, vcc_lo, s1, v3, vcc_lo
	global_load_b32 v4, v[4:5], off
	s_mov_b32 s0, exec_lo
	global_load_b32 v2, v[2:3], off
	v_mbcnt_lo_u32_b32 v3, -1, 0
	s_delay_alu instid0(VALU_DEP_1) | instskip(NEXT) | instid1(VALU_DEP_1)
	v_and_b32_e32 v5, 15, v3
	v_cmp_ne_u32_e32 vcc_lo, 0, v5
	s_waitcnt vmcnt(1)
	v_mov_b32_dpp v6, v4 row_shr:1 row_mask:0xf bank_mask:0xf
	s_delay_alu instid0(VALU_DEP_1) | instskip(SKIP_1) | instid1(VALU_DEP_2)
	v_cndmask_b32_e32 v6, 0, v6, vcc_lo
	v_cmp_lt_u32_e32 vcc_lo, 1, v5
	v_add_nc_u32_e32 v4, v6, v4
	s_delay_alu instid0(VALU_DEP_1) | instskip(NEXT) | instid1(VALU_DEP_1)
	v_mov_b32_dpp v6, v4 row_shr:2 row_mask:0xf bank_mask:0xf
	v_cndmask_b32_e32 v6, 0, v6, vcc_lo
	v_cmp_lt_u32_e32 vcc_lo, 3, v5
	s_delay_alu instid0(VALU_DEP_2) | instskip(NEXT) | instid1(VALU_DEP_1)
	v_add_nc_u32_e32 v4, v4, v6
	v_mov_b32_dpp v6, v4 row_shr:4 row_mask:0xf bank_mask:0xf
	s_delay_alu instid0(VALU_DEP_1) | instskip(SKIP_1) | instid1(VALU_DEP_2)
	v_cndmask_b32_e32 v6, 0, v6, vcc_lo
	v_cmp_lt_u32_e32 vcc_lo, 7, v5
	v_add_nc_u32_e32 v4, v4, v6
	s_delay_alu instid0(VALU_DEP_1) | instskip(NEXT) | instid1(VALU_DEP_1)
	v_mov_b32_dpp v6, v4 row_shr:8 row_mask:0xf bank_mask:0xf
	v_cndmask_b32_e32 v5, 0, v6, vcc_lo
	v_bfe_i32 v6, v3, 4, 1
	s_delay_alu instid0(VALU_DEP_2) | instskip(SKIP_4) | instid1(VALU_DEP_2)
	v_add_nc_u32_e32 v4, v4, v5
	ds_swizzle_b32 v5, v4 offset:swizzle(BROADCAST,32,15)
	s_waitcnt lgkmcnt(0)
	v_and_b32_e32 v5, v6, v5
	v_lshrrev_b32_e32 v6, 5, v0
	v_add_nc_u32_e32 v5, v4, v5
	v_cmpx_eq_u32_e64 v7, v0
	s_cbranch_execz .LBB8_2
; %bb.1:
	s_delay_alu instid0(VALU_DEP_3)
	v_lshlrev_b32_e32 v4, 2, v6
	ds_store_b32 v4, v5
.LBB8_2:
	s_or_b32 exec_lo, exec_lo, s0
	v_lshlrev_b32_e32 v4, 2, v0
	s_mov_b32 s0, exec_lo
	s_waitcnt vmcnt(0) lgkmcnt(0)
	s_barrier
	buffer_gl0_inv
	v_cmpx_gt_u32_e32 8, v0
	s_cbranch_execz .LBB8_4
; %bb.3:
	ds_load_b32 v7, v4
	s_waitcnt lgkmcnt(0)
	v_mov_b32_dpp v9, v7 row_shr:1 row_mask:0xf bank_mask:0xf
	v_and_b32_e32 v8, 7, v3
	s_delay_alu instid0(VALU_DEP_1) | instskip(NEXT) | instid1(VALU_DEP_3)
	v_cmp_ne_u32_e32 vcc_lo, 0, v8
	v_cndmask_b32_e32 v9, 0, v9, vcc_lo
	v_cmp_lt_u32_e32 vcc_lo, 1, v8
	s_delay_alu instid0(VALU_DEP_2) | instskip(NEXT) | instid1(VALU_DEP_1)
	v_add_nc_u32_e32 v7, v9, v7
	v_mov_b32_dpp v9, v7 row_shr:2 row_mask:0xf bank_mask:0xf
	s_delay_alu instid0(VALU_DEP_1) | instskip(SKIP_1) | instid1(VALU_DEP_2)
	v_cndmask_b32_e32 v9, 0, v9, vcc_lo
	v_cmp_lt_u32_e32 vcc_lo, 3, v8
	v_add_nc_u32_e32 v7, v7, v9
	s_delay_alu instid0(VALU_DEP_1) | instskip(NEXT) | instid1(VALU_DEP_1)
	v_mov_b32_dpp v9, v7 row_shr:4 row_mask:0xf bank_mask:0xf
	v_cndmask_b32_e32 v8, 0, v9, vcc_lo
	s_delay_alu instid0(VALU_DEP_1)
	v_add_nc_u32_e32 v7, v7, v8
	ds_store_b32 v4, v7
.LBB8_4:
	s_or_b32 exec_lo, exec_lo, s0
	v_dual_mov_b32 v8, 0 :: v_dual_mov_b32 v7, 0
	s_mov_b32 s0, exec_lo
	s_waitcnt lgkmcnt(0)
	s_barrier
	buffer_gl0_inv
	v_cmpx_lt_u32_e32 31, v0
	s_cbranch_execz .LBB8_6
; %bb.5:
	v_lshl_add_u32 v6, v6, 2, -4
	ds_load_b32 v7, v6
.LBB8_6:
	s_or_b32 exec_lo, exec_lo, s0
	v_add_nc_u32_e32 v6, -1, v3
	ds_load_b32 v8, v8 offset:28
	v_cmp_eq_u32_e64 s0, 0, v3
	s_mov_b32 s15, 0
	s_waitcnt lgkmcnt(0)
	v_cmp_gt_i32_e32 vcc_lo, 0, v6
	s_barrier
	buffer_gl0_inv
	v_dual_cndmask_b32 v6, v6, v3 :: v_dual_add_nc_u32 v5, v7, v5
	s_delay_alu instid0(VALU_DEP_1)
	v_lshlrev_b32_e32 v6, 2, v6
	ds_bpermute_b32 v5, v6, v5
	v_cmp_eq_u32_e32 vcc_lo, 0, v8
	v_readfirstlane_b32 s18, v8
	s_and_b32 vcc_lo, exec_lo, vcc_lo
	s_waitcnt lgkmcnt(0)
	v_cndmask_b32_e64 v3, v5, v7, s0
	ds_store_2addr_stride64_b32 v4, v2, v3 offset1:4
	s_waitcnt lgkmcnt(0)
	s_barrier
	buffer_gl0_inv
	s_cbranch_vccnz .LBB8_91
; %bb.7:
	v_mul_lo_u32 v1, v1, 14
	v_mov_b32_e32 v2, 0
	v_mul_u32_u24_e32 v0, 14, v0
	s_mov_b32 s19, s18
	s_mov_b32 s14, s15
	v_mov_b32_e32 v23, 0x80
	s_delay_alu instid0(VALU_DEP_4)
	v_add_nc_u32_e32 v7, 2, v1
	ds_load_b32 v5, v2 offset:1536
	v_lshlrev_b64 v[2:3], 2, v[1:2]
	v_or_b32_e32 v6, 1, v1
	v_add_nc_u32_e32 v8, 3, v1
	v_add_nc_u32_e32 v9, 4, v1
	;; [unrolled: 1-line block ×4, first 2 shown]
	v_add_co_u32 v12, vcc_lo, s4, v2
	v_add_co_ci_u32_e32 v13, vcc_lo, s5, v3, vcc_lo
	v_add_co_u32 v21, vcc_lo, s6, v2
	v_add_nc_u32_e32 v14, 7, v1
	v_add_nc_u32_e32 v15, 8, v1
	;; [unrolled: 1-line block ×7, first 2 shown]
	v_add_co_ci_u32_e32 v22, vcc_lo, s7, v3, vcc_lo
	s_branch .LBB8_9
.LBB8_8:                                ;   in Loop: Header=BB8_9 Depth=1
	s_or_b32 exec_lo, exec_lo, s0
	s_addk_i32 s14, 0xe00
	s_addk_i32 s19, 0xf200
	s_cmp_lt_u32 s14, s18
	s_cbranch_scc0 .LBB8_91
.LBB8_9:                                ; =>This Inner Loop Header: Depth=1
	v_add_nc_u32_e32 v4, s14, v0
	s_waitcnt lgkmcnt(0)
	s_delay_alu instid0(VALU_DEP_1) | instskip(SKIP_3) | instid1(VALU_DEP_3)
	v_cmp_gt_u32_e32 vcc_lo, v5, v4
	v_cndmask_b32_e64 v3, 0xc0, 64, vcc_lo
	v_cndmask_b32_e64 v2, 0x81, 0, vcc_lo
	v_cndmask_b32_e32 v25, 0x100, v23, vcc_lo
	v_lshlrev_b32_e32 v24, 2, v3
	v_or_b32_e32 v26, 1, v3
	ds_load_b32 v24, v24 offset:1024
	s_waitcnt lgkmcnt(0)
	v_cmp_gt_u32_e32 vcc_lo, v24, v4
	v_dual_cndmask_b32 v2, v26, v2 :: v_dual_cndmask_b32 v3, v25, v3
	s_delay_alu instid0(VALU_DEP_1) | instskip(NEXT) | instid1(VALU_DEP_1)
	v_sub_nc_u32_e32 v24, v3, v2
	v_lshrrev_b16 v25, 15, v24
	s_delay_alu instid0(VALU_DEP_1) | instskip(NEXT) | instid1(VALU_DEP_1)
	v_add_nc_u16 v24, v24, v25
	v_ashrrev_i16 v24, 1, v24
	s_delay_alu instid0(VALU_DEP_1) | instskip(NEXT) | instid1(VALU_DEP_1)
	v_bfe_i32 v24, v24, 0, 16
	v_add_nc_u32_e32 v24, v2, v24
	s_delay_alu instid0(VALU_DEP_1) | instskip(NEXT) | instid1(VALU_DEP_1)
	v_min_i32_e32 v24, 0xff, v24
	v_lshlrev_b32_e32 v25, 2, v24
	v_add_nc_u32_e32 v26, 1, v24
	ds_load_b32 v25, v25 offset:1024
	s_waitcnt lgkmcnt(0)
	v_cmp_gt_u32_e32 vcc_lo, v25, v4
	v_dual_cndmask_b32 v2, v26, v2 :: v_dual_cndmask_b32 v3, v3, v24
	s_delay_alu instid0(VALU_DEP_1) | instskip(NEXT) | instid1(VALU_DEP_1)
	v_sub_nc_u32_e32 v24, v3, v2
	v_lshrrev_b16 v25, 15, v24
	s_delay_alu instid0(VALU_DEP_1) | instskip(NEXT) | instid1(VALU_DEP_1)
	v_add_nc_u16 v24, v24, v25
	v_ashrrev_i16 v24, 1, v24
	s_delay_alu instid0(VALU_DEP_1) | instskip(NEXT) | instid1(VALU_DEP_1)
	v_bfe_i32 v24, v24, 0, 16
	v_add_nc_u32_e32 v24, v2, v24
	s_delay_alu instid0(VALU_DEP_1) | instskip(NEXT) | instid1(VALU_DEP_1)
	v_min_i32_e32 v24, 0xff, v24
	v_add_nc_u32_e32 v26, 1, v24
	v_lshlrev_b32_e32 v25, 2, v24
	ds_load_b32 v25, v25 offset:1024
	s_waitcnt lgkmcnt(0)
	v_cmp_gt_u32_e32 vcc_lo, v25, v4
	v_dual_cndmask_b32 v2, v26, v2 :: v_dual_cndmask_b32 v3, v3, v24
	s_delay_alu instid0(VALU_DEP_1) | instskip(NEXT) | instid1(VALU_DEP_1)
	v_sub_nc_u32_e32 v24, v3, v2
	v_lshrrev_b16 v25, 15, v24
	s_delay_alu instid0(VALU_DEP_1) | instskip(NEXT) | instid1(VALU_DEP_1)
	v_add_nc_u16 v24, v24, v25
	v_ashrrev_i16 v24, 1, v24
	s_delay_alu instid0(VALU_DEP_1) | instskip(NEXT) | instid1(VALU_DEP_1)
	v_bfe_i32 v24, v24, 0, 16
	v_add_nc_u32_e32 v24, v2, v24
	s_delay_alu instid0(VALU_DEP_1) | instskip(NEXT) | instid1(VALU_DEP_1)
	v_min_i32_e32 v24, 0xff, v24
	v_lshlrev_b32_e32 v25, 2, v24
	v_add_nc_u32_e32 v26, 1, v24
	ds_load_b32 v25, v25 offset:1024
	s_waitcnt lgkmcnt(0)
	v_cmp_gt_u32_e32 vcc_lo, v25, v4
	v_dual_cndmask_b32 v2, v26, v2 :: v_dual_cndmask_b32 v3, v3, v24
	s_delay_alu instid0(VALU_DEP_1) | instskip(NEXT) | instid1(VALU_DEP_1)
	v_sub_nc_u32_e32 v24, v3, v2
	v_lshrrev_b16 v25, 15, v24
	s_delay_alu instid0(VALU_DEP_1) | instskip(NEXT) | instid1(VALU_DEP_1)
	v_add_nc_u16 v24, v24, v25
	v_ashrrev_i16 v24, 1, v24
	s_delay_alu instid0(VALU_DEP_1) | instskip(NEXT) | instid1(VALU_DEP_1)
	v_bfe_i32 v24, v24, 0, 16
	v_add_nc_u32_e32 v24, v2, v24
	s_delay_alu instid0(VALU_DEP_1) | instskip(NEXT) | instid1(VALU_DEP_1)
	v_min_i32_e32 v24, 0xff, v24
	v_lshlrev_b32_e32 v25, 2, v24
	v_add_nc_u32_e32 v26, 1, v24
	;; [unrolled: 17-line block ×5, first 2 shown]
	ds_load_b32 v24, v24 offset:1024
	s_waitcnt lgkmcnt(0)
	v_cmp_gt_u32_e32 vcc_lo, v24, v4
	v_cndmask_b32_e32 v35, v3, v2, vcc_lo
	s_delay_alu instid0(VALU_DEP_1) | instskip(NEXT) | instid1(VALU_DEP_1)
	v_lshlrev_b32_e32 v26, 2, v35
	v_add_nc_u32_e32 v2, 0x3fc, v26
	v_add_nc_u32_e32 v24, -4, v26
	ds_load_2addr_b32 v[2:3], v2 offset1:1
	ds_load_b32 v32, v24
	v_add_nc_u32_e32 v24, 1, v4
	s_waitcnt lgkmcnt(1)
	v_sub_nc_u32_e32 v25, v4, v2
	s_delay_alu instid0(VALU_DEP_2) | instskip(SKIP_1) | instid1(VALU_DEP_2)
	v_cmp_eq_u32_e32 vcc_lo, v24, v3
	s_waitcnt lgkmcnt(0)
	v_dual_mov_b32 v33, v32 :: v_dual_mov_b32 v24, v25
	s_and_saveexec_b32 s0, vcc_lo
	s_cbranch_execz .LBB8_11
; %bb.10:                               ;   in Loop: Header=BB8_9 Depth=1
	ds_load_b32 v2, v26 offset:1028
	ds_load_b32 v33, v26
	v_add_nc_u32_e32 v35, 1, v35
	v_sub_nc_u32_e32 v24, v4, v3
	s_waitcnt lgkmcnt(1)
	v_mov_b32_e32 v3, v2
.LBB8_11:                               ;   in Loop: Header=BB8_9 Depth=1
	s_or_b32 exec_lo, exec_lo, s0
	v_add_nc_u32_e32 v2, 2, v4
	v_mov_b32_e32 v26, v24
	s_waitcnt lgkmcnt(0)
	v_mov_b32_e32 v36, v33
	s_mov_b32 s0, exec_lo
	v_cmpx_eq_u32_e64 v2, v3
	s_cbranch_execz .LBB8_13
; %bb.12:                               ;   in Loop: Header=BB8_9 Depth=1
	v_lshlrev_b32_e32 v2, 2, v35
	v_add_nc_u32_e32 v35, 1, v35
	v_sub_nc_u32_e32 v26, v4, v3
	ds_load_b32 v27, v2 offset:1028
	ds_load_b32 v36, v2
	s_waitcnt lgkmcnt(1)
	v_mov_b32_e32 v3, v27
.LBB8_13:                               ;   in Loop: Header=BB8_9 Depth=1
	s_or_b32 exec_lo, exec_lo, s0
	v_dual_mov_b32 v27, v26 :: v_dual_add_nc_u32 v2, 3, v4
	s_waitcnt lgkmcnt(0)
	v_mov_b32_e32 v38, v36
	s_mov_b32 s0, exec_lo
	s_delay_alu instid0(VALU_DEP_2)
	v_cmpx_eq_u32_e64 v2, v3
	s_cbranch_execz .LBB8_15
; %bb.14:                               ;   in Loop: Header=BB8_9 Depth=1
	v_lshlrev_b32_e32 v27, 2, v35
	v_add_nc_u32_e32 v35, 1, v35
	s_delay_alu instid0(VALU_DEP_2)
	v_add_nc_u32_e32 v2, 0x400, v27
	ds_load_2addr_b32 v[2:3], v2 offset1:1
	ds_load_b32 v38, v27
	s_waitcnt lgkmcnt(1)
	v_sub_nc_u32_e32 v27, v4, v2
.LBB8_15:                               ;   in Loop: Header=BB8_9 Depth=1
	s_or_b32 exec_lo, exec_lo, s0
	v_add_nc_u32_e32 v2, 4, v4
	s_delay_alu instid0(VALU_DEP_2)
	v_mov_b32_e32 v28, v27
	s_waitcnt lgkmcnt(0)
	v_mov_b32_e32 v40, v38
	s_mov_b32 s0, exec_lo
	v_cmpx_eq_u32_e64 v2, v3
	s_cbranch_execz .LBB8_17
; %bb.16:                               ;   in Loop: Header=BB8_9 Depth=1
	v_lshlrev_b32_e32 v28, 2, v35
	v_add_nc_u32_e32 v35, 1, v35
	s_delay_alu instid0(VALU_DEP_2)
	v_add_nc_u32_e32 v2, 0x400, v28
	ds_load_2addr_b32 v[2:3], v2 offset1:1
	ds_load_b32 v40, v28
	s_waitcnt lgkmcnt(1)
	v_sub_nc_u32_e32 v28, v4, v2
.LBB8_17:                               ;   in Loop: Header=BB8_9 Depth=1
	s_or_b32 exec_lo, exec_lo, s0
	s_delay_alu instid0(VALU_DEP_1) | instskip(SKIP_3) | instid1(VALU_DEP_2)
	v_dual_mov_b32 v29, v28 :: v_dual_add_nc_u32 v2, 5, v4
	s_waitcnt lgkmcnt(0)
	v_mov_b32_e32 v42, v40
	s_mov_b32 s0, exec_lo
	v_cmpx_eq_u32_e64 v2, v3
	s_cbranch_execz .LBB8_19
; %bb.18:                               ;   in Loop: Header=BB8_9 Depth=1
	v_lshlrev_b32_e32 v29, 2, v35
	v_add_nc_u32_e32 v35, 1, v35
	s_delay_alu instid0(VALU_DEP_2)
	v_add_nc_u32_e32 v2, 0x400, v29
	ds_load_2addr_b32 v[2:3], v2 offset1:1
	ds_load_b32 v42, v29
	s_waitcnt lgkmcnt(1)
	v_sub_nc_u32_e32 v29, v4, v2
.LBB8_19:                               ;   in Loop: Header=BB8_9 Depth=1
	s_or_b32 exec_lo, exec_lo, s0
	v_add_nc_u32_e32 v2, 6, v4
	s_delay_alu instid0(VALU_DEP_2)
	v_mov_b32_e32 v30, v29
	s_waitcnt lgkmcnt(0)
	v_mov_b32_e32 v44, v42
	s_mov_b32 s0, exec_lo
	v_cmpx_eq_u32_e64 v2, v3
	s_cbranch_execz .LBB8_21
; %bb.20:                               ;   in Loop: Header=BB8_9 Depth=1
	v_lshlrev_b32_e32 v30, 2, v35
	v_add_nc_u32_e32 v35, 1, v35
	s_delay_alu instid0(VALU_DEP_2)
	v_add_nc_u32_e32 v2, 0x400, v30
	ds_load_2addr_b32 v[2:3], v2 offset1:1
	ds_load_b32 v44, v30
	s_waitcnt lgkmcnt(1)
	v_sub_nc_u32_e32 v30, v4, v2
.LBB8_21:                               ;   in Loop: Header=BB8_9 Depth=1
	s_or_b32 exec_lo, exec_lo, s0
	s_delay_alu instid0(VALU_DEP_1) | instskip(SKIP_3) | instid1(VALU_DEP_2)
	v_dual_mov_b32 v31, v30 :: v_dual_add_nc_u32 v2, 7, v4
	s_waitcnt lgkmcnt(0)
	v_mov_b32_e32 v46, v44
	s_mov_b32 s0, exec_lo
	v_cmpx_eq_u32_e64 v2, v3
	s_cbranch_execz .LBB8_23
; %bb.22:                               ;   in Loop: Header=BB8_9 Depth=1
	v_lshlrev_b32_e32 v31, 2, v35
	v_add_nc_u32_e32 v35, 1, v35
	s_delay_alu instid0(VALU_DEP_2)
	v_add_nc_u32_e32 v2, 0x400, v31
	ds_load_2addr_b32 v[2:3], v2 offset1:1
	ds_load_b32 v46, v31
	s_waitcnt lgkmcnt(1)
	v_sub_nc_u32_e32 v31, v4, v2
.LBB8_23:                               ;   in Loop: Header=BB8_9 Depth=1
	s_or_b32 exec_lo, exec_lo, s0
	s_waitcnt lgkmcnt(0)
	v_dual_mov_b32 v47, v46 :: v_dual_add_nc_u32 v2, 8, v4
	s_delay_alu instid0(VALU_DEP_2) | instskip(SKIP_1) | instid1(VALU_DEP_2)
	v_mov_b32_e32 v34, v31
	s_mov_b32 s0, exec_lo
	v_cmpx_eq_u32_e64 v2, v3
	s_cbranch_execz .LBB8_25
; %bb.24:                               ;   in Loop: Header=BB8_9 Depth=1
	v_lshlrev_b32_e32 v34, 2, v35
	v_add_nc_u32_e32 v35, 1, v35
	s_delay_alu instid0(VALU_DEP_2)
	v_add_nc_u32_e32 v2, 0x400, v34
	ds_load_2addr_b32 v[2:3], v2 offset1:1
	ds_load_b32 v47, v34
	s_waitcnt lgkmcnt(1)
	v_sub_nc_u32_e32 v34, v4, v2
.LBB8_25:                               ;   in Loop: Header=BB8_9 Depth=1
	s_or_b32 exec_lo, exec_lo, s0
	s_delay_alu instid0(VALU_DEP_1) | instskip(SKIP_3) | instid1(VALU_DEP_2)
	v_dual_mov_b32 v37, v34 :: v_dual_add_nc_u32 v2, 9, v4
	s_waitcnt lgkmcnt(0)
	v_mov_b32_e32 v48, v47
	s_mov_b32 s0, exec_lo
	v_cmpx_eq_u32_e64 v2, v3
	s_cbranch_execz .LBB8_27
; %bb.26:                               ;   in Loop: Header=BB8_9 Depth=1
	v_lshlrev_b32_e32 v37, 2, v35
	v_add_nc_u32_e32 v35, 1, v35
	s_delay_alu instid0(VALU_DEP_2)
	v_add_nc_u32_e32 v2, 0x400, v37
	ds_load_2addr_b32 v[2:3], v2 offset1:1
	ds_load_b32 v48, v37
	s_waitcnt lgkmcnt(1)
	v_sub_nc_u32_e32 v37, v4, v2
.LBB8_27:                               ;   in Loop: Header=BB8_9 Depth=1
	s_or_b32 exec_lo, exec_lo, s0
	s_delay_alu instid0(VALU_DEP_1) | instskip(SKIP_3) | instid1(VALU_DEP_2)
	v_dual_mov_b32 v39, v37 :: v_dual_add_nc_u32 v2, 10, v4
	s_waitcnt lgkmcnt(0)
	;; [unrolled: 18-line block ×4, first 2 shown]
	v_mov_b32_e32 v51, v50
	s_mov_b32 s0, exec_lo
	v_cmpx_eq_u32_e64 v2, v3
	s_cbranch_execz .LBB8_33
; %bb.32:                               ;   in Loop: Header=BB8_9 Depth=1
	v_lshlrev_b32_e32 v43, 2, v35
	v_add_nc_u32_e32 v35, 1, v35
	s_delay_alu instid0(VALU_DEP_2)
	v_add_nc_u32_e32 v2, 0x400, v43
	ds_load_2addr_b32 v[2:3], v2 offset1:1
	ds_load_b32 v51, v43
	s_waitcnt lgkmcnt(1)
	v_sub_nc_u32_e32 v43, v4, v2
.LBB8_33:                               ;   in Loop: Header=BB8_9 Depth=1
	s_or_b32 exec_lo, exec_lo, s0
	s_delay_alu instid0(VALU_DEP_1) | instskip(NEXT) | instid1(VALU_DEP_1)
	v_dual_mov_b32 v45, v43 :: v_dual_add_nc_u32 v2, 13, v4
	v_cmp_eq_u32_e32 vcc_lo, v2, v3
	s_waitcnt lgkmcnt(0)
	v_mov_b32_e32 v2, v51
	s_and_saveexec_b32 s0, vcc_lo
	s_cbranch_execz .LBB8_35
; %bb.34:                               ;   in Loop: Header=BB8_9 Depth=1
	v_lshlrev_b32_e32 v2, 2, v35
	ds_load_2addr_stride64_b32 v[2:3], v2 offset1:4
	s_waitcnt lgkmcnt(0)
	v_sub_nc_u32_e32 v45, v4, v3
.LBB8_35:                               ;   in Loop: Header=BB8_9 Depth=1
	s_or_b32 exec_lo, exec_lo, s0
	s_lshl_b64 s[16:17], s[14:15], 2
	s_min_u32 s12, s19, 0xe00
	v_add_co_u32 v3, vcc_lo, v12, s16
	v_add_co_ci_u32_e32 v4, vcc_lo, s17, v13, vcc_lo
	v_cmp_gt_u32_e32 vcc_lo, s12, v1
	s_and_saveexec_b32 s0, vcc_lo
	s_cbranch_execnz .LBB8_64
; %bb.36:                               ;   in Loop: Header=BB8_9 Depth=1
	s_or_b32 exec_lo, exec_lo, s0
	v_cmp_gt_u32_e64 s0, s12, v6
	s_delay_alu instid0(VALU_DEP_1)
	s_and_saveexec_b32 s1, s0
	s_cbranch_execnz .LBB8_65
.LBB8_37:                               ;   in Loop: Header=BB8_9 Depth=1
	s_or_b32 exec_lo, exec_lo, s1
	v_cmp_gt_u32_e64 s1, s12, v7
	s_delay_alu instid0(VALU_DEP_1)
	s_and_saveexec_b32 s2, s1
	s_cbranch_execnz .LBB8_66
.LBB8_38:                               ;   in Loop: Header=BB8_9 Depth=1
	s_or_b32 exec_lo, exec_lo, s2
	v_cmp_gt_u32_e64 s2, s12, v8
	s_delay_alu instid0(VALU_DEP_1)
	s_and_saveexec_b32 s3, s2
	s_cbranch_execnz .LBB8_67
.LBB8_39:                               ;   in Loop: Header=BB8_9 Depth=1
	s_or_b32 exec_lo, exec_lo, s3
	v_cmp_gt_u32_e64 s3, s12, v9
	s_delay_alu instid0(VALU_DEP_1)
	s_and_saveexec_b32 s4, s3
	s_cbranch_execnz .LBB8_68
.LBB8_40:                               ;   in Loop: Header=BB8_9 Depth=1
	s_or_b32 exec_lo, exec_lo, s4
	v_cmp_gt_u32_e64 s4, s12, v10
	s_delay_alu instid0(VALU_DEP_1)
	s_and_saveexec_b32 s5, s4
	s_cbranch_execnz .LBB8_69
.LBB8_41:                               ;   in Loop: Header=BB8_9 Depth=1
	s_or_b32 exec_lo, exec_lo, s5
	v_cmp_gt_u32_e64 s5, s12, v11
	s_delay_alu instid0(VALU_DEP_1)
	s_and_saveexec_b32 s6, s5
	s_cbranch_execnz .LBB8_70
.LBB8_42:                               ;   in Loop: Header=BB8_9 Depth=1
	s_or_b32 exec_lo, exec_lo, s6
	v_cmp_gt_u32_e64 s6, s12, v14
	s_delay_alu instid0(VALU_DEP_1)
	s_and_saveexec_b32 s7, s6
	s_cbranch_execnz .LBB8_71
.LBB8_43:                               ;   in Loop: Header=BB8_9 Depth=1
	s_or_b32 exec_lo, exec_lo, s7
	v_cmp_gt_u32_e64 s7, s12, v15
	s_delay_alu instid0(VALU_DEP_1)
	s_and_saveexec_b32 s8, s7
	s_cbranch_execnz .LBB8_72
.LBB8_44:                               ;   in Loop: Header=BB8_9 Depth=1
	s_or_b32 exec_lo, exec_lo, s8
	v_cmp_gt_u32_e64 s8, s12, v16
	s_delay_alu instid0(VALU_DEP_1)
	s_and_saveexec_b32 s9, s8
	s_cbranch_execnz .LBB8_73
.LBB8_45:                               ;   in Loop: Header=BB8_9 Depth=1
	s_or_b32 exec_lo, exec_lo, s9
	v_cmp_gt_u32_e64 s9, s12, v17
	s_delay_alu instid0(VALU_DEP_1)
	s_and_saveexec_b32 s10, s9
	s_cbranch_execnz .LBB8_74
.LBB8_46:                               ;   in Loop: Header=BB8_9 Depth=1
	s_or_b32 exec_lo, exec_lo, s10
	v_cmp_gt_u32_e64 s10, s12, v18
	s_delay_alu instid0(VALU_DEP_1)
	s_and_saveexec_b32 s11, s10
	s_cbranch_execnz .LBB8_75
.LBB8_47:                               ;   in Loop: Header=BB8_9 Depth=1
	s_or_b32 exec_lo, exec_lo, s11
	v_cmp_gt_u32_e64 s11, s12, v19
	s_delay_alu instid0(VALU_DEP_1)
	s_and_saveexec_b32 s13, s11
	s_cbranch_execnz .LBB8_76
.LBB8_48:                               ;   in Loop: Header=BB8_9 Depth=1
	s_or_b32 exec_lo, exec_lo, s13
	v_cmp_gt_u32_e64 s12, s12, v20
	s_delay_alu instid0(VALU_DEP_1)
	s_and_saveexec_b32 s13, s12
	s_cbranch_execz .LBB8_50
.LBB8_49:                               ;   in Loop: Header=BB8_9 Depth=1
	global_store_b32 v[3:4], v2, off offset:52
.LBB8_50:                               ;   in Loop: Header=BB8_9 Depth=1
	s_or_b32 exec_lo, exec_lo, s13
	v_add_co_u32 v2, s13, v21, s16
	s_delay_alu instid0(VALU_DEP_1)
	v_add_co_ci_u32_e64 v3, s13, s17, v22, s13
	s_and_saveexec_b32 s13, vcc_lo
	s_cbranch_execnz .LBB8_77
; %bb.51:                               ;   in Loop: Header=BB8_9 Depth=1
	s_or_b32 exec_lo, exec_lo, s13
	s_and_saveexec_b32 s13, s0
	s_cbranch_execnz .LBB8_78
.LBB8_52:                               ;   in Loop: Header=BB8_9 Depth=1
	s_or_b32 exec_lo, exec_lo, s13
	s_and_saveexec_b32 s0, s1
	s_cbranch_execnz .LBB8_79
.LBB8_53:                               ;   in Loop: Header=BB8_9 Depth=1
	s_or_b32 exec_lo, exec_lo, s0
	s_and_saveexec_b32 s0, s2
	s_cbranch_execnz .LBB8_80
.LBB8_54:                               ;   in Loop: Header=BB8_9 Depth=1
	s_or_b32 exec_lo, exec_lo, s0
	s_and_saveexec_b32 s0, s3
	s_cbranch_execnz .LBB8_81
.LBB8_55:                               ;   in Loop: Header=BB8_9 Depth=1
	s_or_b32 exec_lo, exec_lo, s0
	s_and_saveexec_b32 s0, s4
	s_cbranch_execnz .LBB8_82
.LBB8_56:                               ;   in Loop: Header=BB8_9 Depth=1
	s_or_b32 exec_lo, exec_lo, s0
	s_and_saveexec_b32 s0, s5
	s_cbranch_execnz .LBB8_83
.LBB8_57:                               ;   in Loop: Header=BB8_9 Depth=1
	s_or_b32 exec_lo, exec_lo, s0
	s_and_saveexec_b32 s0, s6
	s_cbranch_execnz .LBB8_84
.LBB8_58:                               ;   in Loop: Header=BB8_9 Depth=1
	s_or_b32 exec_lo, exec_lo, s0
	s_and_saveexec_b32 s0, s7
	s_cbranch_execnz .LBB8_85
.LBB8_59:                               ;   in Loop: Header=BB8_9 Depth=1
	s_or_b32 exec_lo, exec_lo, s0
	s_and_saveexec_b32 s0, s8
	s_cbranch_execnz .LBB8_86
.LBB8_60:                               ;   in Loop: Header=BB8_9 Depth=1
	s_or_b32 exec_lo, exec_lo, s0
	s_and_saveexec_b32 s0, s9
	s_cbranch_execnz .LBB8_87
.LBB8_61:                               ;   in Loop: Header=BB8_9 Depth=1
	s_or_b32 exec_lo, exec_lo, s0
	s_and_saveexec_b32 s0, s10
	s_cbranch_execnz .LBB8_88
.LBB8_62:                               ;   in Loop: Header=BB8_9 Depth=1
	s_or_b32 exec_lo, exec_lo, s0
	s_and_saveexec_b32 s0, s11
	s_cbranch_execnz .LBB8_89
.LBB8_63:                               ;   in Loop: Header=BB8_9 Depth=1
	s_or_b32 exec_lo, exec_lo, s0
	s_and_saveexec_b32 s0, s12
	s_cbranch_execz .LBB8_8
	s_branch .LBB8_90
.LBB8_64:                               ;   in Loop: Header=BB8_9 Depth=1
	global_store_b32 v[3:4], v32, off
	s_or_b32 exec_lo, exec_lo, s0
	v_cmp_gt_u32_e64 s0, s12, v6
	s_delay_alu instid0(VALU_DEP_1)
	s_and_saveexec_b32 s1, s0
	s_cbranch_execz .LBB8_37
.LBB8_65:                               ;   in Loop: Header=BB8_9 Depth=1
	global_store_b32 v[3:4], v33, off offset:4
	s_or_b32 exec_lo, exec_lo, s1
	v_cmp_gt_u32_e64 s1, s12, v7
	s_delay_alu instid0(VALU_DEP_1)
	s_and_saveexec_b32 s2, s1
	s_cbranch_execz .LBB8_38
.LBB8_66:                               ;   in Loop: Header=BB8_9 Depth=1
	global_store_b32 v[3:4], v36, off offset:8
	s_or_b32 exec_lo, exec_lo, s2
	v_cmp_gt_u32_e64 s2, s12, v8
	s_delay_alu instid0(VALU_DEP_1)
	s_and_saveexec_b32 s3, s2
	s_cbranch_execz .LBB8_39
.LBB8_67:                               ;   in Loop: Header=BB8_9 Depth=1
	global_store_b32 v[3:4], v38, off offset:12
	s_or_b32 exec_lo, exec_lo, s3
	v_cmp_gt_u32_e64 s3, s12, v9
	s_delay_alu instid0(VALU_DEP_1)
	s_and_saveexec_b32 s4, s3
	s_cbranch_execz .LBB8_40
.LBB8_68:                               ;   in Loop: Header=BB8_9 Depth=1
	global_store_b32 v[3:4], v40, off offset:16
	s_or_b32 exec_lo, exec_lo, s4
	v_cmp_gt_u32_e64 s4, s12, v10
	s_delay_alu instid0(VALU_DEP_1)
	s_and_saveexec_b32 s5, s4
	s_cbranch_execz .LBB8_41
.LBB8_69:                               ;   in Loop: Header=BB8_9 Depth=1
	global_store_b32 v[3:4], v42, off offset:20
	s_or_b32 exec_lo, exec_lo, s5
	v_cmp_gt_u32_e64 s5, s12, v11
	s_delay_alu instid0(VALU_DEP_1)
	s_and_saveexec_b32 s6, s5
	s_cbranch_execz .LBB8_42
.LBB8_70:                               ;   in Loop: Header=BB8_9 Depth=1
	global_store_b32 v[3:4], v44, off offset:24
	s_or_b32 exec_lo, exec_lo, s6
	v_cmp_gt_u32_e64 s6, s12, v14
	s_delay_alu instid0(VALU_DEP_1)
	s_and_saveexec_b32 s7, s6
	s_cbranch_execz .LBB8_43
.LBB8_71:                               ;   in Loop: Header=BB8_9 Depth=1
	global_store_b32 v[3:4], v46, off offset:28
	s_or_b32 exec_lo, exec_lo, s7
	v_cmp_gt_u32_e64 s7, s12, v15
	s_delay_alu instid0(VALU_DEP_1)
	s_and_saveexec_b32 s8, s7
	s_cbranch_execz .LBB8_44
.LBB8_72:                               ;   in Loop: Header=BB8_9 Depth=1
	global_store_b32 v[3:4], v47, off offset:32
	s_or_b32 exec_lo, exec_lo, s8
	v_cmp_gt_u32_e64 s8, s12, v16
	s_delay_alu instid0(VALU_DEP_1)
	s_and_saveexec_b32 s9, s8
	s_cbranch_execz .LBB8_45
.LBB8_73:                               ;   in Loop: Header=BB8_9 Depth=1
	global_store_b32 v[3:4], v48, off offset:36
	s_or_b32 exec_lo, exec_lo, s9
	v_cmp_gt_u32_e64 s9, s12, v17
	s_delay_alu instid0(VALU_DEP_1)
	s_and_saveexec_b32 s10, s9
	s_cbranch_execz .LBB8_46
.LBB8_74:                               ;   in Loop: Header=BB8_9 Depth=1
	global_store_b32 v[3:4], v49, off offset:40
	s_or_b32 exec_lo, exec_lo, s10
	v_cmp_gt_u32_e64 s10, s12, v18
	s_delay_alu instid0(VALU_DEP_1)
	s_and_saveexec_b32 s11, s10
	s_cbranch_execz .LBB8_47
.LBB8_75:                               ;   in Loop: Header=BB8_9 Depth=1
	global_store_b32 v[3:4], v50, off offset:44
	s_or_b32 exec_lo, exec_lo, s11
	v_cmp_gt_u32_e64 s11, s12, v19
	s_delay_alu instid0(VALU_DEP_1)
	s_and_saveexec_b32 s13, s11
	s_cbranch_execz .LBB8_48
.LBB8_76:                               ;   in Loop: Header=BB8_9 Depth=1
	global_store_b32 v[3:4], v51, off offset:48
	s_or_b32 exec_lo, exec_lo, s13
	v_cmp_gt_u32_e64 s12, s12, v20
	s_delay_alu instid0(VALU_DEP_1)
	s_and_saveexec_b32 s13, s12
	s_cbranch_execnz .LBB8_49
	s_branch .LBB8_50
.LBB8_77:                               ;   in Loop: Header=BB8_9 Depth=1
	global_store_b32 v[2:3], v25, off
	s_or_b32 exec_lo, exec_lo, s13
	s_and_saveexec_b32 s13, s0
	s_cbranch_execz .LBB8_52
.LBB8_78:                               ;   in Loop: Header=BB8_9 Depth=1
	v_add_nc_u32_e32 v4, 1, v24
	global_store_b32 v[2:3], v4, off offset:4
	s_or_b32 exec_lo, exec_lo, s13
	s_and_saveexec_b32 s0, s1
	s_cbranch_execz .LBB8_53
.LBB8_79:                               ;   in Loop: Header=BB8_9 Depth=1
	v_add_nc_u32_e32 v4, 2, v26
	global_store_b32 v[2:3], v4, off offset:8
	s_or_b32 exec_lo, exec_lo, s0
	s_and_saveexec_b32 s0, s2
	s_cbranch_execz .LBB8_54
.LBB8_80:                               ;   in Loop: Header=BB8_9 Depth=1
	v_add_nc_u32_e32 v4, 3, v27
	global_store_b32 v[2:3], v4, off offset:12
	s_or_b32 exec_lo, exec_lo, s0
	s_and_saveexec_b32 s0, s3
	s_cbranch_execz .LBB8_55
.LBB8_81:                               ;   in Loop: Header=BB8_9 Depth=1
	v_add_nc_u32_e32 v4, 4, v28
	global_store_b32 v[2:3], v4, off offset:16
	s_or_b32 exec_lo, exec_lo, s0
	s_and_saveexec_b32 s0, s4
	s_cbranch_execz .LBB8_56
.LBB8_82:                               ;   in Loop: Header=BB8_9 Depth=1
	v_add_nc_u32_e32 v4, 5, v29
	global_store_b32 v[2:3], v4, off offset:20
	s_or_b32 exec_lo, exec_lo, s0
	s_and_saveexec_b32 s0, s5
	s_cbranch_execz .LBB8_57
.LBB8_83:                               ;   in Loop: Header=BB8_9 Depth=1
	v_add_nc_u32_e32 v4, 6, v30
	global_store_b32 v[2:3], v4, off offset:24
	s_or_b32 exec_lo, exec_lo, s0
	s_and_saveexec_b32 s0, s6
	s_cbranch_execz .LBB8_58
.LBB8_84:                               ;   in Loop: Header=BB8_9 Depth=1
	v_add_nc_u32_e32 v4, 7, v31
	global_store_b32 v[2:3], v4, off offset:28
	s_or_b32 exec_lo, exec_lo, s0
	s_and_saveexec_b32 s0, s7
	s_cbranch_execz .LBB8_59
.LBB8_85:                               ;   in Loop: Header=BB8_9 Depth=1
	v_add_nc_u32_e32 v4, 8, v34
	global_store_b32 v[2:3], v4, off offset:32
	s_or_b32 exec_lo, exec_lo, s0
	s_and_saveexec_b32 s0, s8
	s_cbranch_execz .LBB8_60
.LBB8_86:                               ;   in Loop: Header=BB8_9 Depth=1
	v_add_nc_u32_e32 v4, 9, v37
	global_store_b32 v[2:3], v4, off offset:36
	s_or_b32 exec_lo, exec_lo, s0
	s_and_saveexec_b32 s0, s9
	s_cbranch_execz .LBB8_61
.LBB8_87:                               ;   in Loop: Header=BB8_9 Depth=1
	v_add_nc_u32_e32 v4, 10, v39
	global_store_b32 v[2:3], v4, off offset:40
	s_or_b32 exec_lo, exec_lo, s0
	s_and_saveexec_b32 s0, s10
	s_cbranch_execz .LBB8_62
.LBB8_88:                               ;   in Loop: Header=BB8_9 Depth=1
	v_add_nc_u32_e32 v4, 11, v41
	global_store_b32 v[2:3], v4, off offset:44
	s_or_b32 exec_lo, exec_lo, s0
	s_and_saveexec_b32 s0, s11
	s_cbranch_execz .LBB8_63
.LBB8_89:                               ;   in Loop: Header=BB8_9 Depth=1
	v_add_nc_u32_e32 v4, 12, v43
	global_store_b32 v[2:3], v4, off offset:48
	s_or_b32 exec_lo, exec_lo, s0
	s_and_saveexec_b32 s0, s12
	s_cbranch_execz .LBB8_8
.LBB8_90:                               ;   in Loop: Header=BB8_9 Depth=1
	v_add_nc_u32_e32 v4, 13, v45
	global_store_b32 v[2:3], v4, off offset:52
	s_branch .LBB8_8
.LBB8_91:
	s_nop 0
	s_sendmsg sendmsg(MSG_DEALLOC_VGPRS)
	s_endpgm
	.section	.rodata,"a",@progbits
	.p2align	6, 0x0
	.amdhsa_kernel _Z30block_run_length_decode_kernelIfiLj256ELj1ELj14EEvPKT_PKT0_PS0_PS3_
		.amdhsa_group_segment_fixed_size 2048
		.amdhsa_private_segment_fixed_size 0
		.amdhsa_kernarg_size 32
		.amdhsa_user_sgpr_count 15
		.amdhsa_user_sgpr_dispatch_ptr 0
		.amdhsa_user_sgpr_queue_ptr 0
		.amdhsa_user_sgpr_kernarg_segment_ptr 1
		.amdhsa_user_sgpr_dispatch_id 0
		.amdhsa_user_sgpr_private_segment_size 0
		.amdhsa_wavefront_size32 1
		.amdhsa_uses_dynamic_stack 0
		.amdhsa_enable_private_segment 0
		.amdhsa_system_sgpr_workgroup_id_x 1
		.amdhsa_system_sgpr_workgroup_id_y 0
		.amdhsa_system_sgpr_workgroup_id_z 0
		.amdhsa_system_sgpr_workgroup_info 0
		.amdhsa_system_vgpr_workitem_id 0
		.amdhsa_next_free_vgpr 52
		.amdhsa_next_free_sgpr 20
		.amdhsa_reserve_vcc 1
		.amdhsa_float_round_mode_32 0
		.amdhsa_float_round_mode_16_64 0
		.amdhsa_float_denorm_mode_32 3
		.amdhsa_float_denorm_mode_16_64 3
		.amdhsa_dx10_clamp 1
		.amdhsa_ieee_mode 1
		.amdhsa_fp16_overflow 0
		.amdhsa_workgroup_processor_mode 1
		.amdhsa_memory_ordered 1
		.amdhsa_forward_progress 0
		.amdhsa_shared_vgpr_count 0
		.amdhsa_exception_fp_ieee_invalid_op 0
		.amdhsa_exception_fp_denorm_src 0
		.amdhsa_exception_fp_ieee_div_zero 0
		.amdhsa_exception_fp_ieee_overflow 0
		.amdhsa_exception_fp_ieee_underflow 0
		.amdhsa_exception_fp_ieee_inexact 0
		.amdhsa_exception_int_div_zero 0
	.end_amdhsa_kernel
	.section	.text._Z30block_run_length_decode_kernelIfiLj256ELj1ELj14EEvPKT_PKT0_PS0_PS3_,"axG",@progbits,_Z30block_run_length_decode_kernelIfiLj256ELj1ELj14EEvPKT_PKT0_PS0_PS3_,comdat
.Lfunc_end8:
	.size	_Z30block_run_length_decode_kernelIfiLj256ELj1ELj14EEvPKT_PKT0_PS0_PS3_, .Lfunc_end8-_Z30block_run_length_decode_kernelIfiLj256ELj1ELj14EEvPKT_PKT0_PS0_PS3_
                                        ; -- End function
	.section	.AMDGPU.csdata,"",@progbits
; Kernel info:
; codeLenInByte = 3876
; NumSgprs: 22
; NumVgprs: 52
; ScratchSize: 0
; MemoryBound: 0
; FloatMode: 240
; IeeeMode: 1
; LDSByteSize: 2048 bytes/workgroup (compile time only)
; SGPRBlocks: 2
; VGPRBlocks: 6
; NumSGPRsForWavesPerEU: 22
; NumVGPRsForWavesPerEU: 52
; Occupancy: 16
; WaveLimiterHint : 0
; COMPUTE_PGM_RSRC2:SCRATCH_EN: 0
; COMPUTE_PGM_RSRC2:USER_SGPR: 15
; COMPUTE_PGM_RSRC2:TRAP_HANDLER: 0
; COMPUTE_PGM_RSRC2:TGID_X_EN: 1
; COMPUTE_PGM_RSRC2:TGID_Y_EN: 0
; COMPUTE_PGM_RSRC2:TGID_Z_EN: 0
; COMPUTE_PGM_RSRC2:TIDIG_COMP_CNT: 0
	.section	.text._Z30block_run_length_decode_kernelIcxLj256ELj1ELj14EEvPKT_PKT0_PS0_PS3_,"axG",@progbits,_Z30block_run_length_decode_kernelIcxLj256ELj1ELj14EEvPKT_PKT0_PS0_PS3_,comdat
	.protected	_Z30block_run_length_decode_kernelIcxLj256ELj1ELj14EEvPKT_PKT0_PS0_PS3_ ; -- Begin function _Z30block_run_length_decode_kernelIcxLj256ELj1ELj14EEvPKT_PKT0_PS0_PS3_
	.globl	_Z30block_run_length_decode_kernelIcxLj256ELj1ELj14EEvPKT_PKT0_PS0_PS3_
	.p2align	8
	.type	_Z30block_run_length_decode_kernelIcxLj256ELj1ELj14EEvPKT_PKT0_PS0_PS3_,@function
_Z30block_run_length_decode_kernelIcxLj256ELj1ELj14EEvPKT_PKT0_PS0_PS3_: ; @_Z30block_run_length_decode_kernelIcxLj256ELj1ELj14EEvPKT_PKT0_PS0_PS3_
; %bb.0:
	s_load_b256 s[0:7], s[0:1], 0x0
	v_mov_b32_e32 v3, 0
	v_lshl_or_b32 v2, s15, 8, v0
	v_or_b32_e32 v7, 31, v0
	s_delay_alu instid0(VALU_DEP_2) | instskip(SKIP_1) | instid1(VALU_DEP_1)
	v_lshlrev_b64 v[3:4], 3, v[2:3]
	s_waitcnt lgkmcnt(0)
	v_add_co_u32 v3, vcc_lo, s2, v3
	s_delay_alu instid0(VALU_DEP_2) | instskip(SKIP_4) | instid1(VALU_DEP_1)
	v_add_co_ci_u32_e32 v4, vcc_lo, s3, v4, vcc_lo
	global_load_b32 v4, v[3:4], off
	global_load_u8 v1, v2, s[0:1]
	v_mbcnt_lo_u32_b32 v3, -1, 0
	s_mov_b32 s0, exec_lo
	v_and_b32_e32 v5, 15, v3
	s_delay_alu instid0(VALU_DEP_1) | instskip(SKIP_2) | instid1(VALU_DEP_1)
	v_cmp_ne_u32_e32 vcc_lo, 0, v5
	s_waitcnt vmcnt(1)
	v_mov_b32_dpp v6, v4 row_shr:1 row_mask:0xf bank_mask:0xf
	v_cndmask_b32_e32 v6, 0, v6, vcc_lo
	v_cmp_lt_u32_e32 vcc_lo, 1, v5
	s_delay_alu instid0(VALU_DEP_2) | instskip(NEXT) | instid1(VALU_DEP_1)
	v_add_nc_u32_e32 v4, v6, v4
	v_mov_b32_dpp v6, v4 row_shr:2 row_mask:0xf bank_mask:0xf
	s_delay_alu instid0(VALU_DEP_1) | instskip(SKIP_1) | instid1(VALU_DEP_2)
	v_cndmask_b32_e32 v6, 0, v6, vcc_lo
	v_cmp_lt_u32_e32 vcc_lo, 3, v5
	v_add_nc_u32_e32 v4, v4, v6
	s_delay_alu instid0(VALU_DEP_1) | instskip(NEXT) | instid1(VALU_DEP_1)
	v_mov_b32_dpp v6, v4 row_shr:4 row_mask:0xf bank_mask:0xf
	v_cndmask_b32_e32 v6, 0, v6, vcc_lo
	v_cmp_lt_u32_e32 vcc_lo, 7, v5
	s_delay_alu instid0(VALU_DEP_2) | instskip(NEXT) | instid1(VALU_DEP_1)
	v_add_nc_u32_e32 v4, v4, v6
	v_mov_b32_dpp v6, v4 row_shr:8 row_mask:0xf bank_mask:0xf
	s_delay_alu instid0(VALU_DEP_1) | instskip(SKIP_1) | instid1(VALU_DEP_2)
	v_cndmask_b32_e32 v5, 0, v6, vcc_lo
	v_bfe_i32 v6, v3, 4, 1
	v_add_nc_u32_e32 v4, v4, v5
	ds_swizzle_b32 v5, v4 offset:swizzle(BROADCAST,32,15)
	s_waitcnt lgkmcnt(0)
	v_and_b32_e32 v5, v6, v5
	v_lshrrev_b32_e32 v6, 5, v0
	s_delay_alu instid0(VALU_DEP_2)
	v_add_nc_u32_e32 v5, v4, v5
	v_cmpx_eq_u32_e64 v7, v0
	s_cbranch_execz .LBB9_2
; %bb.1:
	s_delay_alu instid0(VALU_DEP_3)
	v_lshlrev_b32_e32 v4, 2, v6
	ds_store_b32 v4, v5
.LBB9_2:
	s_or_b32 exec_lo, exec_lo, s0
	v_lshlrev_b32_e32 v4, 2, v0
	s_mov_b32 s0, exec_lo
	s_waitcnt vmcnt(0) lgkmcnt(0)
	s_barrier
	buffer_gl0_inv
	v_cmpx_gt_u32_e32 8, v0
	s_cbranch_execz .LBB9_4
; %bb.3:
	ds_load_b32 v7, v4
	s_waitcnt lgkmcnt(0)
	v_mov_b32_dpp v9, v7 row_shr:1 row_mask:0xf bank_mask:0xf
	v_and_b32_e32 v8, 7, v3
	s_delay_alu instid0(VALU_DEP_1) | instskip(NEXT) | instid1(VALU_DEP_3)
	v_cmp_ne_u32_e32 vcc_lo, 0, v8
	v_cndmask_b32_e32 v9, 0, v9, vcc_lo
	v_cmp_lt_u32_e32 vcc_lo, 1, v8
	s_delay_alu instid0(VALU_DEP_2) | instskip(NEXT) | instid1(VALU_DEP_1)
	v_add_nc_u32_e32 v7, v9, v7
	v_mov_b32_dpp v9, v7 row_shr:2 row_mask:0xf bank_mask:0xf
	s_delay_alu instid0(VALU_DEP_1) | instskip(SKIP_1) | instid1(VALU_DEP_2)
	v_cndmask_b32_e32 v9, 0, v9, vcc_lo
	v_cmp_lt_u32_e32 vcc_lo, 3, v8
	v_add_nc_u32_e32 v7, v7, v9
	s_delay_alu instid0(VALU_DEP_1) | instskip(NEXT) | instid1(VALU_DEP_1)
	v_mov_b32_dpp v9, v7 row_shr:4 row_mask:0xf bank_mask:0xf
	v_cndmask_b32_e32 v8, 0, v9, vcc_lo
	s_delay_alu instid0(VALU_DEP_1)
	v_add_nc_u32_e32 v7, v7, v8
	ds_store_b32 v4, v7
.LBB9_4:
	s_or_b32 exec_lo, exec_lo, s0
	v_dual_mov_b32 v8, 0 :: v_dual_mov_b32 v7, 0
	s_mov_b32 s0, exec_lo
	s_waitcnt lgkmcnt(0)
	s_barrier
	buffer_gl0_inv
	v_cmpx_lt_u32_e32 31, v0
	s_cbranch_execz .LBB9_6
; %bb.5:
	v_lshl_add_u32 v6, v6, 2, -4
	ds_load_b32 v7, v6
.LBB9_6:
	s_or_b32 exec_lo, exec_lo, s0
	v_add_nc_u32_e32 v6, -1, v3
	ds_load_b32 v8, v8 offset:28
	v_cmp_eq_u32_e64 s0, 0, v3
	s_mov_b32 s15, 0
	s_waitcnt lgkmcnt(0)
	v_cmp_gt_i32_e32 vcc_lo, 0, v6
	s_barrier
	buffer_gl0_inv
	v_dual_cndmask_b32 v6, v6, v3 :: v_dual_add_nc_u32 v5, v7, v5
	s_delay_alu instid0(VALU_DEP_1)
	v_lshlrev_b32_e32 v6, 2, v6
	ds_bpermute_b32 v5, v6, v5
	v_cmp_eq_u32_e32 vcc_lo, 0, v8
	v_readfirstlane_b32 s16, v8
	s_and_b32 vcc_lo, exec_lo, vcc_lo
	s_waitcnt lgkmcnt(0)
	v_cndmask_b32_e64 v3, v5, v7, s0
	ds_store_b8 v0, v1
	ds_store_b32 v4, v3 offset:256
	s_waitcnt lgkmcnt(0)
	s_barrier
	buffer_gl0_inv
	s_cbranch_vccnz .LBB9_91
; %bb.7:
	v_mul_lo_u32 v2, v2, 14
	v_mov_b32_e32 v1, 0
	v_mul_u32_u24_e32 v5, 14, v0
	s_mov_b32 s17, s16
	s_mov_b32 s14, s15
	v_mov_b32_e32 v24, 0x80
	s_delay_alu instid0(VALU_DEP_4) | instskip(SKIP_3) | instid1(VALU_DEP_1)
	v_add_nc_u32_e32 v10, 2, v2
	ds_load_b32 v6, v1 offset:768
	v_dual_mov_b32 v3, v1 :: v_dual_add_nc_u32 v12, 4, v2
	v_add_co_u32 v7, s0, s4, v2
	v_add_co_ci_u32_e64 v8, null, s5, 0, s0
	s_delay_alu instid0(VALU_DEP_3)
	v_lshlrev_b64 v[3:4], 3, v[2:3]
	v_or_b32_e32 v9, 1, v2
	v_add_nc_u32_e32 v11, 3, v2
	v_add_nc_u32_e32 v13, 5, v2
	;; [unrolled: 1-line block ×4, first 2 shown]
	v_add_co_u32 v22, vcc_lo, s6, v3
	v_add_nc_u32_e32 v16, 8, v2
	v_add_nc_u32_e32 v17, 9, v2
	;; [unrolled: 1-line block ×6, first 2 shown]
	v_add_co_ci_u32_e32 v23, vcc_lo, s7, v4, vcc_lo
	s_branch .LBB9_9
.LBB9_8:                                ;   in Loop: Header=BB9_9 Depth=1
	s_or_b32 exec_lo, exec_lo, s0
	s_addk_i32 s14, 0xe00
	s_addk_i32 s17, 0xf200
	s_cmp_lt_u32 s14, s16
	s_cbranch_scc0 .LBB9_91
.LBB9_9:                                ; =>This Inner Loop Header: Depth=1
	v_add_nc_u32_e32 v28, s14, v5
	s_waitcnt lgkmcnt(0)
	s_delay_alu instid0(VALU_DEP_1) | instskip(SKIP_2) | instid1(VALU_DEP_2)
	v_cmp_gt_u32_e32 vcc_lo, v6, v28
	v_cndmask_b32_e64 v3, 0xc0, 64, vcc_lo
	v_cndmask_b32_e64 v0, 0x81, 0, vcc_lo
	v_dual_cndmask_b32 v25, 0x100, v24 :: v_dual_lshlrev_b32 v4, 2, v3
	v_or_b32_e32 v26, 1, v3
	ds_load_b32 v4, v4 offset:256
	s_waitcnt lgkmcnt(0)
	v_cmp_gt_u32_e32 vcc_lo, v4, v28
	v_dual_cndmask_b32 v0, v26, v0 :: v_dual_cndmask_b32 v3, v25, v3
	s_delay_alu instid0(VALU_DEP_1) | instskip(NEXT) | instid1(VALU_DEP_1)
	v_sub_nc_u32_e32 v4, v3, v0
	v_lshrrev_b16 v25, 15, v4
	s_delay_alu instid0(VALU_DEP_1) | instskip(NEXT) | instid1(VALU_DEP_1)
	v_add_nc_u16 v4, v4, v25
	v_ashrrev_i16 v4, 1, v4
	s_delay_alu instid0(VALU_DEP_1) | instskip(NEXT) | instid1(VALU_DEP_1)
	v_bfe_i32 v4, v4, 0, 16
	v_add_nc_u32_e32 v4, v0, v4
	s_delay_alu instid0(VALU_DEP_1) | instskip(NEXT) | instid1(VALU_DEP_1)
	v_min_i32_e32 v4, 0xff, v4
	v_lshlrev_b32_e32 v25, 2, v4
	v_add_nc_u32_e32 v26, 1, v4
	ds_load_b32 v25, v25 offset:256
	s_waitcnt lgkmcnt(0)
	v_cmp_gt_u32_e32 vcc_lo, v25, v28
	v_cndmask_b32_e32 v0, v26, v0, vcc_lo
	v_cndmask_b32_e32 v3, v3, v4, vcc_lo
	s_delay_alu instid0(VALU_DEP_1) | instskip(NEXT) | instid1(VALU_DEP_1)
	v_sub_nc_u32_e32 v4, v3, v0
	v_lshrrev_b16 v25, 15, v4
	s_delay_alu instid0(VALU_DEP_1) | instskip(NEXT) | instid1(VALU_DEP_1)
	v_add_nc_u16 v4, v4, v25
	v_ashrrev_i16 v4, 1, v4
	s_delay_alu instid0(VALU_DEP_1) | instskip(NEXT) | instid1(VALU_DEP_1)
	v_bfe_i32 v4, v4, 0, 16
	v_add_nc_u32_e32 v4, v0, v4
	s_delay_alu instid0(VALU_DEP_1) | instskip(NEXT) | instid1(VALU_DEP_1)
	v_min_i32_e32 v4, 0xff, v4
	v_lshlrev_b32_e32 v25, 2, v4
	v_add_nc_u32_e32 v26, 1, v4
	ds_load_b32 v25, v25 offset:256
	s_waitcnt lgkmcnt(0)
	v_cmp_gt_u32_e32 vcc_lo, v25, v28
	v_cndmask_b32_e32 v0, v26, v0, vcc_lo
	v_cndmask_b32_e32 v3, v3, v4, vcc_lo
	;; [unrolled: 18-line block ×5, first 2 shown]
	s_delay_alu instid0(VALU_DEP_1) | instskip(NEXT) | instid1(VALU_DEP_1)
	v_sub_nc_u32_e32 v4, v3, v0
	v_lshrrev_b16 v25, 15, v4
	s_delay_alu instid0(VALU_DEP_1) | instskip(NEXT) | instid1(VALU_DEP_1)
	v_add_nc_u16 v4, v4, v25
	v_ashrrev_i16 v4, 1, v4
	s_delay_alu instid0(VALU_DEP_1) | instskip(NEXT) | instid1(VALU_DEP_1)
	v_bfe_i32 v4, v4, 0, 16
	v_add_nc_u32_e32 v4, v0, v4
	s_delay_alu instid0(VALU_DEP_1) | instskip(NEXT) | instid1(VALU_DEP_1)
	v_min_i32_e32 v4, 0xff, v4
	v_lshlrev_b32_e32 v25, 2, v4
	v_add_nc_u32_e32 v26, 1, v4
	ds_load_b32 v25, v25 offset:256
	s_waitcnt lgkmcnt(0)
	v_cmp_gt_u32_e32 vcc_lo, v25, v28
	v_add_nc_u32_e32 v25, 1, v28
	v_cndmask_b32_e32 v0, v26, v0, vcc_lo
	v_cndmask_b32_e32 v3, v3, v4, vcc_lo
	s_delay_alu instid0(VALU_DEP_1) | instskip(NEXT) | instid1(VALU_DEP_1)
	v_sub_nc_u32_e32 v3, v3, v0
	v_lshrrev_b16 v4, 15, v3
	s_delay_alu instid0(VALU_DEP_1) | instskip(NEXT) | instid1(VALU_DEP_1)
	v_add_nc_u16 v3, v3, v4
	v_ashrrev_i16 v3, 1, v3
	s_delay_alu instid0(VALU_DEP_1) | instskip(NEXT) | instid1(VALU_DEP_1)
	v_bfe_i32 v3, v3, 0, 16
	v_add_nc_u32_e32 v3, v0, v3
	s_delay_alu instid0(VALU_DEP_1) | instskip(NEXT) | instid1(VALU_DEP_1)
	v_min_i32_e32 v3, 0xff, v3
	v_lshlrev_b32_e32 v4, 2, v3
	v_add_nc_u32_e32 v3, 1, v3
	ds_load_b32 v4, v4 offset:256
	s_waitcnt lgkmcnt(0)
	v_cmp_gt_u32_e32 vcc_lo, v4, v28
	v_cndmask_b32_e32 v43, v3, v0, vcc_lo
	s_delay_alu instid0(VALU_DEP_1)
	v_lshlrev_b32_e32 v26, 2, v43
	v_add_nc_u32_e32 v0, -1, v43
	ds_load_2addr_b32 v[3:4], v26 offset0:63 offset1:64
	ds_load_u8 v34, v0
	s_waitcnt lgkmcnt(1)
	v_sub_nc_u32_e32 v0, v28, v3
	v_cmp_eq_u32_e32 vcc_lo, v25, v4
	s_waitcnt lgkmcnt(0)
	v_mov_b32_e32 v35, v34
	s_delay_alu instid0(VALU_DEP_3)
	v_mov_b32_e32 v25, v0
	s_and_saveexec_b32 s0, vcc_lo
	s_cbranch_execz .LBB9_11
; %bb.10:                               ;   in Loop: Header=BB9_9 Depth=1
	ds_load_b32 v3, v26 offset:260
	ds_load_u8 v35, v43
	v_add_nc_u32_e32 v43, 1, v43
	v_sub_nc_u32_e32 v25, v28, v4
	s_waitcnt lgkmcnt(1)
	v_mov_b32_e32 v4, v3
.LBB9_11:                               ;   in Loop: Header=BB9_9 Depth=1
	s_or_b32 exec_lo, exec_lo, s0
	s_delay_alu instid0(VALU_DEP_1) | instskip(SKIP_3) | instid1(VALU_DEP_2)
	v_dual_mov_b32 v26, v25 :: v_dual_add_nc_u32 v3, 2, v28
	s_waitcnt lgkmcnt(0)
	v_mov_b32_e32 v37, v35
	s_mov_b32 s0, exec_lo
	v_cmpx_eq_u32_e64 v3, v4
	s_cbranch_execz .LBB9_13
; %bb.12:                               ;   in Loop: Header=BB9_9 Depth=1
	v_add_nc_u32_e32 v3, 1, v43
	s_delay_alu instid0(VALU_DEP_1)
	v_lshlrev_b32_e32 v26, 2, v3
	ds_load_b32 v27, v26 offset:256
	ds_load_u8 v37, v43
	v_sub_nc_u32_e32 v26, v28, v4
	s_waitcnt lgkmcnt(1)
	v_mov_b32_e32 v4, v27
	v_mov_b32_e32 v43, v3
.LBB9_13:                               ;   in Loop: Header=BB9_9 Depth=1
	s_or_b32 exec_lo, exec_lo, s0
	v_add_nc_u32_e32 v3, 3, v28
	v_mov_b32_e32 v27, v26
	s_waitcnt lgkmcnt(0)
	v_mov_b32_e32 v39, v37
	s_mov_b32 s0, exec_lo
	v_cmpx_eq_u32_e64 v3, v4
	s_cbranch_execz .LBB9_15
; %bb.14:                               ;   in Loop: Header=BB9_9 Depth=1
	v_lshlrev_b32_e32 v3, 2, v43
	ds_load_2addr_b32 v[3:4], v3 offset0:64 offset1:65
	ds_load_u8 v39, v43
	v_add_nc_u32_e32 v43, 1, v43
	s_waitcnt lgkmcnt(1)
	v_sub_nc_u32_e32 v27, v28, v3
.LBB9_15:                               ;   in Loop: Header=BB9_9 Depth=1
	s_or_b32 exec_lo, exec_lo, s0
	v_add_nc_u32_e32 v3, 4, v28
	s_delay_alu instid0(VALU_DEP_2)
	v_mov_b32_e32 v29, v27
	s_waitcnt lgkmcnt(0)
	v_mov_b32_e32 v41, v39
	s_mov_b32 s0, exec_lo
	v_cmpx_eq_u32_e64 v3, v4
	s_cbranch_execz .LBB9_17
; %bb.16:                               ;   in Loop: Header=BB9_9 Depth=1
	v_lshlrev_b32_e32 v3, 2, v43
	ds_load_2addr_b32 v[3:4], v3 offset0:64 offset1:65
	ds_load_u8 v41, v43
	v_add_nc_u32_e32 v43, 1, v43
	s_waitcnt lgkmcnt(1)
	v_sub_nc_u32_e32 v29, v28, v3
.LBB9_17:                               ;   in Loop: Header=BB9_9 Depth=1
	s_or_b32 exec_lo, exec_lo, s0
	s_delay_alu instid0(VALU_DEP_1) | instskip(SKIP_3) | instid1(VALU_DEP_2)
	v_dual_mov_b32 v30, v29 :: v_dual_add_nc_u32 v3, 5, v28
	s_waitcnt lgkmcnt(0)
	v_mov_b32_e32 v45, v41
	s_mov_b32 s0, exec_lo
	v_cmpx_eq_u32_e64 v3, v4
	s_cbranch_execz .LBB9_19
; %bb.18:                               ;   in Loop: Header=BB9_9 Depth=1
	v_lshlrev_b32_e32 v3, 2, v43
	ds_load_2addr_b32 v[3:4], v3 offset0:64 offset1:65
	ds_load_u8 v45, v43
	v_add_nc_u32_e32 v43, 1, v43
	s_waitcnt lgkmcnt(1)
	v_sub_nc_u32_e32 v30, v28, v3
.LBB9_19:                               ;   in Loop: Header=BB9_9 Depth=1
	s_or_b32 exec_lo, exec_lo, s0
	s_waitcnt lgkmcnt(0)
	v_dual_mov_b32 v46, v45 :: v_dual_add_nc_u32 v3, 6, v28
	s_delay_alu instid0(VALU_DEP_2) | instskip(SKIP_1) | instid1(VALU_DEP_2)
	v_mov_b32_e32 v31, v30
	s_mov_b32 s0, exec_lo
	v_cmpx_eq_u32_e64 v3, v4
	s_cbranch_execz .LBB9_21
; %bb.20:                               ;   in Loop: Header=BB9_9 Depth=1
	v_lshlrev_b32_e32 v3, 2, v43
	ds_load_2addr_b32 v[3:4], v3 offset0:64 offset1:65
	ds_load_u8 v46, v43
	v_add_nc_u32_e32 v43, 1, v43
	s_waitcnt lgkmcnt(1)
	v_sub_nc_u32_e32 v31, v28, v3
.LBB9_21:                               ;   in Loop: Header=BB9_9 Depth=1
	s_or_b32 exec_lo, exec_lo, s0
	s_delay_alu instid0(VALU_DEP_1) | instskip(SKIP_3) | instid1(VALU_DEP_2)
	v_dual_mov_b32 v32, v31 :: v_dual_add_nc_u32 v3, 7, v28
	s_waitcnt lgkmcnt(0)
	v_mov_b32_e32 v47, v46
	s_mov_b32 s0, exec_lo
	v_cmpx_eq_u32_e64 v3, v4
	s_cbranch_execz .LBB9_23
; %bb.22:                               ;   in Loop: Header=BB9_9 Depth=1
	v_lshlrev_b32_e32 v3, 2, v43
	ds_load_2addr_b32 v[3:4], v3 offset0:64 offset1:65
	ds_load_u8 v47, v43
	v_add_nc_u32_e32 v43, 1, v43
	s_waitcnt lgkmcnt(1)
	v_sub_nc_u32_e32 v32, v28, v3
.LBB9_23:                               ;   in Loop: Header=BB9_9 Depth=1
	s_or_b32 exec_lo, exec_lo, s0
	s_waitcnt lgkmcnt(0)
	v_dual_mov_b32 v48, v47 :: v_dual_add_nc_u32 v3, 8, v28
	s_delay_alu instid0(VALU_DEP_2) | instskip(SKIP_1) | instid1(VALU_DEP_2)
	v_mov_b32_e32 v33, v32
	s_mov_b32 s0, exec_lo
	v_cmpx_eq_u32_e64 v3, v4
	s_cbranch_execz .LBB9_25
; %bb.24:                               ;   in Loop: Header=BB9_9 Depth=1
	v_lshlrev_b32_e32 v3, 2, v43
	ds_load_2addr_b32 v[3:4], v3 offset0:64 offset1:65
	ds_load_u8 v48, v43
	v_add_nc_u32_e32 v43, 1, v43
	s_waitcnt lgkmcnt(1)
	v_sub_nc_u32_e32 v33, v28, v3
.LBB9_25:                               ;   in Loop: Header=BB9_9 Depth=1
	s_or_b32 exec_lo, exec_lo, s0
	s_delay_alu instid0(VALU_DEP_1) | instskip(SKIP_3) | instid1(VALU_DEP_2)
	v_dual_mov_b32 v36, v33 :: v_dual_add_nc_u32 v3, 9, v28
	s_waitcnt lgkmcnt(0)
	v_mov_b32_e32 v49, v48
	s_mov_b32 s0, exec_lo
	v_cmpx_eq_u32_e64 v3, v4
	s_cbranch_execz .LBB9_27
; %bb.26:                               ;   in Loop: Header=BB9_9 Depth=1
	v_lshlrev_b32_e32 v3, 2, v43
	ds_load_2addr_b32 v[3:4], v3 offset0:64 offset1:65
	ds_load_u8 v49, v43
	v_add_nc_u32_e32 v43, 1, v43
	s_waitcnt lgkmcnt(1)
	v_sub_nc_u32_e32 v36, v28, v3
.LBB9_27:                               ;   in Loop: Header=BB9_9 Depth=1
	s_or_b32 exec_lo, exec_lo, s0
	s_delay_alu instid0(VALU_DEP_1) | instskip(SKIP_3) | instid1(VALU_DEP_2)
	v_dual_mov_b32 v38, v36 :: v_dual_add_nc_u32 v3, 10, v28
	s_waitcnt lgkmcnt(0)
	v_mov_b32_e32 v50, v49
	s_mov_b32 s0, exec_lo
	v_cmpx_eq_u32_e64 v3, v4
	s_cbranch_execz .LBB9_29
; %bb.28:                               ;   in Loop: Header=BB9_9 Depth=1
	v_lshlrev_b32_e32 v3, 2, v43
	ds_load_2addr_b32 v[3:4], v3 offset0:64 offset1:65
	ds_load_u8 v50, v43
	v_add_nc_u32_e32 v43, 1, v43
	s_waitcnt lgkmcnt(1)
	v_sub_nc_u32_e32 v38, v28, v3
.LBB9_29:                               ;   in Loop: Header=BB9_9 Depth=1
	s_or_b32 exec_lo, exec_lo, s0
	s_delay_alu instid0(VALU_DEP_1) | instskip(SKIP_3) | instid1(VALU_DEP_2)
	v_dual_mov_b32 v40, v38 :: v_dual_add_nc_u32 v3, 11, v28
	s_waitcnt lgkmcnt(0)
	v_mov_b32_e32 v51, v50
	s_mov_b32 s0, exec_lo
	v_cmpx_eq_u32_e64 v3, v4
	s_cbranch_execz .LBB9_31
; %bb.30:                               ;   in Loop: Header=BB9_9 Depth=1
	v_lshlrev_b32_e32 v3, 2, v43
	ds_load_2addr_b32 v[3:4], v3 offset0:64 offset1:65
	ds_load_u8 v51, v43
	v_add_nc_u32_e32 v43, 1, v43
	s_waitcnt lgkmcnt(1)
	v_sub_nc_u32_e32 v40, v28, v3
.LBB9_31:                               ;   in Loop: Header=BB9_9 Depth=1
	s_or_b32 exec_lo, exec_lo, s0
	s_delay_alu instid0(VALU_DEP_1) | instskip(SKIP_3) | instid1(VALU_DEP_2)
	v_dual_mov_b32 v42, v40 :: v_dual_add_nc_u32 v3, 12, v28
	s_waitcnt lgkmcnt(0)
	v_mov_b32_e32 v52, v51
	s_mov_b32 s0, exec_lo
	v_cmpx_eq_u32_e64 v3, v4
	s_cbranch_execz .LBB9_33
; %bb.32:                               ;   in Loop: Header=BB9_9 Depth=1
	v_lshlrev_b32_e32 v3, 2, v43
	ds_load_2addr_b32 v[3:4], v3 offset0:64 offset1:65
	ds_load_u8 v52, v43
	v_add_nc_u32_e32 v43, 1, v43
	s_waitcnt lgkmcnt(1)
	v_sub_nc_u32_e32 v42, v28, v3
.LBB9_33:                               ;   in Loop: Header=BB9_9 Depth=1
	s_or_b32 exec_lo, exec_lo, s0
	s_delay_alu instid0(VALU_DEP_1) | instskip(SKIP_3) | instid1(VALU_DEP_2)
	v_dual_mov_b32 v44, v42 :: v_dual_add_nc_u32 v3, 13, v28
	s_waitcnt lgkmcnt(0)
	v_mov_b32_e32 v53, v52
	s_mov_b32 s0, exec_lo
	v_cmpx_eq_u32_e64 v3, v4
	s_cbranch_execz .LBB9_35
; %bb.34:                               ;   in Loop: Header=BB9_9 Depth=1
	v_lshlrev_b32_e32 v3, 2, v43
	ds_load_b32 v3, v3 offset:256
	ds_load_u8 v53, v43
	s_waitcnt lgkmcnt(1)
	v_sub_nc_u32_e32 v44, v28, v3
.LBB9_35:                               ;   in Loop: Header=BB9_9 Depth=1
	s_or_b32 exec_lo, exec_lo, s0
	s_min_u32 s13, s17, 0xe00
	v_add_co_u32 v3, vcc_lo, v7, s14
	v_add_co_ci_u32_e32 v4, vcc_lo, 0, v8, vcc_lo
	v_cmp_gt_u32_e64 s12, s13, v2
	s_delay_alu instid0(VALU_DEP_1)
	s_and_saveexec_b32 s0, s12
	s_cbranch_execnz .LBB9_64
; %bb.36:                               ;   in Loop: Header=BB9_9 Depth=1
	s_or_b32 exec_lo, exec_lo, s0
	v_cmp_gt_u32_e64 s11, s13, v9
	s_delay_alu instid0(VALU_DEP_1)
	s_and_saveexec_b32 s0, s11
	s_cbranch_execnz .LBB9_65
.LBB9_37:                               ;   in Loop: Header=BB9_9 Depth=1
	s_or_b32 exec_lo, exec_lo, s0
	v_cmp_gt_u32_e64 s10, s13, v10
	s_delay_alu instid0(VALU_DEP_1)
	s_and_saveexec_b32 s0, s10
	s_cbranch_execnz .LBB9_66
.LBB9_38:                               ;   in Loop: Header=BB9_9 Depth=1
	s_or_b32 exec_lo, exec_lo, s0
	v_cmp_gt_u32_e64 s9, s13, v11
	s_delay_alu instid0(VALU_DEP_1)
	s_and_saveexec_b32 s0, s9
	s_cbranch_execnz .LBB9_67
.LBB9_39:                               ;   in Loop: Header=BB9_9 Depth=1
	s_or_b32 exec_lo, exec_lo, s0
	v_cmp_gt_u32_e64 s8, s13, v12
	s_delay_alu instid0(VALU_DEP_1)
	s_and_saveexec_b32 s0, s8
	s_cbranch_execnz .LBB9_68
.LBB9_40:                               ;   in Loop: Header=BB9_9 Depth=1
	s_or_b32 exec_lo, exec_lo, s0
	v_cmp_gt_u32_e64 s7, s13, v13
	s_delay_alu instid0(VALU_DEP_1)
	s_and_saveexec_b32 s0, s7
	s_cbranch_execnz .LBB9_69
.LBB9_41:                               ;   in Loop: Header=BB9_9 Depth=1
	s_or_b32 exec_lo, exec_lo, s0
	v_cmp_gt_u32_e64 s6, s13, v14
	s_delay_alu instid0(VALU_DEP_1)
	s_and_saveexec_b32 s0, s6
	s_cbranch_execnz .LBB9_70
.LBB9_42:                               ;   in Loop: Header=BB9_9 Depth=1
	s_or_b32 exec_lo, exec_lo, s0
	v_cmp_gt_u32_e64 s5, s13, v15
	s_delay_alu instid0(VALU_DEP_1)
	s_and_saveexec_b32 s0, s5
	s_cbranch_execnz .LBB9_71
.LBB9_43:                               ;   in Loop: Header=BB9_9 Depth=1
	s_or_b32 exec_lo, exec_lo, s0
	v_cmp_gt_u32_e64 s4, s13, v16
	s_delay_alu instid0(VALU_DEP_1)
	s_and_saveexec_b32 s0, s4
	s_cbranch_execnz .LBB9_72
.LBB9_44:                               ;   in Loop: Header=BB9_9 Depth=1
	s_or_b32 exec_lo, exec_lo, s0
	v_cmp_gt_u32_e64 s3, s13, v17
	s_delay_alu instid0(VALU_DEP_1)
	s_and_saveexec_b32 s0, s3
	s_cbranch_execnz .LBB9_73
.LBB9_45:                               ;   in Loop: Header=BB9_9 Depth=1
	s_or_b32 exec_lo, exec_lo, s0
	v_cmp_gt_u32_e64 s2, s13, v18
	s_delay_alu instid0(VALU_DEP_1)
	s_and_saveexec_b32 s0, s2
	s_cbranch_execnz .LBB9_74
.LBB9_46:                               ;   in Loop: Header=BB9_9 Depth=1
	s_or_b32 exec_lo, exec_lo, s0
	v_cmp_gt_u32_e64 s1, s13, v19
	s_delay_alu instid0(VALU_DEP_1)
	s_and_saveexec_b32 s0, s1
	s_cbranch_execnz .LBB9_75
.LBB9_47:                               ;   in Loop: Header=BB9_9 Depth=1
	s_or_b32 exec_lo, exec_lo, s0
	v_cmp_gt_u32_e64 s0, s13, v20
	s_delay_alu instid0(VALU_DEP_1)
	s_and_saveexec_b32 s18, s0
	s_cbranch_execnz .LBB9_76
.LBB9_48:                               ;   in Loop: Header=BB9_9 Depth=1
	s_or_b32 exec_lo, exec_lo, s18
	v_cmp_gt_u32_e32 vcc_lo, s13, v21
	s_and_saveexec_b32 s13, vcc_lo
	s_cbranch_execz .LBB9_50
.LBB9_49:                               ;   in Loop: Header=BB9_9 Depth=1
	s_waitcnt lgkmcnt(0)
	global_store_b8 v[3:4], v53, off offset:13
.LBB9_50:                               ;   in Loop: Header=BB9_9 Depth=1
	s_or_b32 exec_lo, exec_lo, s13
	s_lshl_b64 s[18:19], s[14:15], 3
	s_delay_alu instid0(SALU_CYCLE_1) | instskip(NEXT) | instid1(VALU_DEP_1)
	v_add_co_u32 v3, s13, v22, s18
	v_add_co_ci_u32_e64 v4, s13, s19, v23, s13
	s_and_saveexec_b32 s13, s12
	s_cbranch_execnz .LBB9_77
; %bb.51:                               ;   in Loop: Header=BB9_9 Depth=1
	s_or_b32 exec_lo, exec_lo, s13
	s_and_saveexec_b32 s12, s11
	s_cbranch_execnz .LBB9_78
.LBB9_52:                               ;   in Loop: Header=BB9_9 Depth=1
	s_or_b32 exec_lo, exec_lo, s12
	s_and_saveexec_b32 s11, s10
	s_cbranch_execnz .LBB9_79
.LBB9_53:                               ;   in Loop: Header=BB9_9 Depth=1
	s_or_b32 exec_lo, exec_lo, s11
	s_and_saveexec_b32 s10, s9
	s_cbranch_execnz .LBB9_80
.LBB9_54:                               ;   in Loop: Header=BB9_9 Depth=1
	s_or_b32 exec_lo, exec_lo, s10
	s_and_saveexec_b32 s9, s8
	s_cbranch_execnz .LBB9_81
.LBB9_55:                               ;   in Loop: Header=BB9_9 Depth=1
	s_or_b32 exec_lo, exec_lo, s9
	s_and_saveexec_b32 s8, s7
	s_cbranch_execnz .LBB9_82
.LBB9_56:                               ;   in Loop: Header=BB9_9 Depth=1
	s_or_b32 exec_lo, exec_lo, s8
	s_and_saveexec_b32 s7, s6
	s_cbranch_execnz .LBB9_83
.LBB9_57:                               ;   in Loop: Header=BB9_9 Depth=1
	s_or_b32 exec_lo, exec_lo, s7
	s_and_saveexec_b32 s6, s5
	s_cbranch_execnz .LBB9_84
.LBB9_58:                               ;   in Loop: Header=BB9_9 Depth=1
	s_or_b32 exec_lo, exec_lo, s6
	s_and_saveexec_b32 s5, s4
	s_cbranch_execnz .LBB9_85
.LBB9_59:                               ;   in Loop: Header=BB9_9 Depth=1
	s_or_b32 exec_lo, exec_lo, s5
	s_and_saveexec_b32 s4, s3
	s_cbranch_execnz .LBB9_86
.LBB9_60:                               ;   in Loop: Header=BB9_9 Depth=1
	s_or_b32 exec_lo, exec_lo, s4
	s_and_saveexec_b32 s3, s2
	s_cbranch_execnz .LBB9_87
.LBB9_61:                               ;   in Loop: Header=BB9_9 Depth=1
	s_or_b32 exec_lo, exec_lo, s3
	s_and_saveexec_b32 s2, s1
	s_cbranch_execnz .LBB9_88
.LBB9_62:                               ;   in Loop: Header=BB9_9 Depth=1
	s_or_b32 exec_lo, exec_lo, s2
	s_and_saveexec_b32 s1, s0
	s_cbranch_execnz .LBB9_89
.LBB9_63:                               ;   in Loop: Header=BB9_9 Depth=1
	s_or_b32 exec_lo, exec_lo, s1
	s_and_saveexec_b32 s0, vcc_lo
	s_cbranch_execz .LBB9_8
	s_branch .LBB9_90
.LBB9_64:                               ;   in Loop: Header=BB9_9 Depth=1
	global_store_b8 v[3:4], v34, off
	s_or_b32 exec_lo, exec_lo, s0
	v_cmp_gt_u32_e64 s11, s13, v9
	s_delay_alu instid0(VALU_DEP_1)
	s_and_saveexec_b32 s0, s11
	s_cbranch_execz .LBB9_37
.LBB9_65:                               ;   in Loop: Header=BB9_9 Depth=1
	global_store_b8 v[3:4], v35, off offset:1
	s_or_b32 exec_lo, exec_lo, s0
	v_cmp_gt_u32_e64 s10, s13, v10
	s_delay_alu instid0(VALU_DEP_1)
	s_and_saveexec_b32 s0, s10
	s_cbranch_execz .LBB9_38
.LBB9_66:                               ;   in Loop: Header=BB9_9 Depth=1
	global_store_b8 v[3:4], v37, off offset:2
	s_or_b32 exec_lo, exec_lo, s0
	v_cmp_gt_u32_e64 s9, s13, v11
	s_delay_alu instid0(VALU_DEP_1)
	s_and_saveexec_b32 s0, s9
	s_cbranch_execz .LBB9_39
.LBB9_67:                               ;   in Loop: Header=BB9_9 Depth=1
	global_store_b8 v[3:4], v39, off offset:3
	s_or_b32 exec_lo, exec_lo, s0
	v_cmp_gt_u32_e64 s8, s13, v12
	s_delay_alu instid0(VALU_DEP_1)
	s_and_saveexec_b32 s0, s8
	s_cbranch_execz .LBB9_40
.LBB9_68:                               ;   in Loop: Header=BB9_9 Depth=1
	global_store_b8 v[3:4], v41, off offset:4
	s_or_b32 exec_lo, exec_lo, s0
	v_cmp_gt_u32_e64 s7, s13, v13
	s_delay_alu instid0(VALU_DEP_1)
	s_and_saveexec_b32 s0, s7
	s_cbranch_execz .LBB9_41
.LBB9_69:                               ;   in Loop: Header=BB9_9 Depth=1
	global_store_b8 v[3:4], v45, off offset:5
	s_or_b32 exec_lo, exec_lo, s0
	v_cmp_gt_u32_e64 s6, s13, v14
	s_delay_alu instid0(VALU_DEP_1)
	s_and_saveexec_b32 s0, s6
	s_cbranch_execz .LBB9_42
.LBB9_70:                               ;   in Loop: Header=BB9_9 Depth=1
	global_store_b8 v[3:4], v46, off offset:6
	s_or_b32 exec_lo, exec_lo, s0
	v_cmp_gt_u32_e64 s5, s13, v15
	s_delay_alu instid0(VALU_DEP_1)
	s_and_saveexec_b32 s0, s5
	s_cbranch_execz .LBB9_43
.LBB9_71:                               ;   in Loop: Header=BB9_9 Depth=1
	global_store_b8 v[3:4], v47, off offset:7
	s_or_b32 exec_lo, exec_lo, s0
	v_cmp_gt_u32_e64 s4, s13, v16
	s_delay_alu instid0(VALU_DEP_1)
	s_and_saveexec_b32 s0, s4
	s_cbranch_execz .LBB9_44
.LBB9_72:                               ;   in Loop: Header=BB9_9 Depth=1
	global_store_b8 v[3:4], v48, off offset:8
	s_or_b32 exec_lo, exec_lo, s0
	v_cmp_gt_u32_e64 s3, s13, v17
	s_delay_alu instid0(VALU_DEP_1)
	s_and_saveexec_b32 s0, s3
	s_cbranch_execz .LBB9_45
.LBB9_73:                               ;   in Loop: Header=BB9_9 Depth=1
	global_store_b8 v[3:4], v49, off offset:9
	s_or_b32 exec_lo, exec_lo, s0
	v_cmp_gt_u32_e64 s2, s13, v18
	s_delay_alu instid0(VALU_DEP_1)
	s_and_saveexec_b32 s0, s2
	s_cbranch_execz .LBB9_46
.LBB9_74:                               ;   in Loop: Header=BB9_9 Depth=1
	global_store_b8 v[3:4], v50, off offset:10
	s_or_b32 exec_lo, exec_lo, s0
	v_cmp_gt_u32_e64 s1, s13, v19
	s_delay_alu instid0(VALU_DEP_1)
	s_and_saveexec_b32 s0, s1
	s_cbranch_execz .LBB9_47
.LBB9_75:                               ;   in Loop: Header=BB9_9 Depth=1
	global_store_b8 v[3:4], v51, off offset:11
	s_or_b32 exec_lo, exec_lo, s0
	v_cmp_gt_u32_e64 s0, s13, v20
	s_delay_alu instid0(VALU_DEP_1)
	s_and_saveexec_b32 s18, s0
	s_cbranch_execz .LBB9_48
.LBB9_76:                               ;   in Loop: Header=BB9_9 Depth=1
	global_store_b8 v[3:4], v52, off offset:12
	s_or_b32 exec_lo, exec_lo, s18
	v_cmp_gt_u32_e32 vcc_lo, s13, v21
	s_and_saveexec_b32 s13, vcc_lo
	s_cbranch_execnz .LBB9_49
	s_branch .LBB9_50
.LBB9_77:                               ;   in Loop: Header=BB9_9 Depth=1
	global_store_b64 v[3:4], v[0:1], off
	s_or_b32 exec_lo, exec_lo, s13
	s_and_saveexec_b32 s12, s11
	s_cbranch_execz .LBB9_52
.LBB9_78:                               ;   in Loop: Header=BB9_9 Depth=1
	v_add_nc_u32_e32 v0, 1, v25
	global_store_b64 v[3:4], v[0:1], off offset:8
	s_or_b32 exec_lo, exec_lo, s12
	s_and_saveexec_b32 s11, s10
	s_cbranch_execz .LBB9_53
.LBB9_79:                               ;   in Loop: Header=BB9_9 Depth=1
	v_add_nc_u32_e32 v0, 2, v26
	global_store_b64 v[3:4], v[0:1], off offset:16
	s_or_b32 exec_lo, exec_lo, s11
	s_and_saveexec_b32 s10, s9
	s_cbranch_execz .LBB9_54
.LBB9_80:                               ;   in Loop: Header=BB9_9 Depth=1
	v_add_nc_u32_e32 v0, 3, v27
	global_store_b64 v[3:4], v[0:1], off offset:24
	s_or_b32 exec_lo, exec_lo, s10
	s_and_saveexec_b32 s9, s8
	s_cbranch_execz .LBB9_55
.LBB9_81:                               ;   in Loop: Header=BB9_9 Depth=1
	v_add_nc_u32_e32 v0, 4, v29
	global_store_b64 v[3:4], v[0:1], off offset:32
	s_or_b32 exec_lo, exec_lo, s9
	s_and_saveexec_b32 s8, s7
	s_cbranch_execz .LBB9_56
.LBB9_82:                               ;   in Loop: Header=BB9_9 Depth=1
	v_add_nc_u32_e32 v0, 5, v30
	global_store_b64 v[3:4], v[0:1], off offset:40
	s_or_b32 exec_lo, exec_lo, s8
	s_and_saveexec_b32 s7, s6
	s_cbranch_execz .LBB9_57
.LBB9_83:                               ;   in Loop: Header=BB9_9 Depth=1
	v_add_nc_u32_e32 v0, 6, v31
	global_store_b64 v[3:4], v[0:1], off offset:48
	s_or_b32 exec_lo, exec_lo, s7
	s_and_saveexec_b32 s6, s5
	s_cbranch_execz .LBB9_58
.LBB9_84:                               ;   in Loop: Header=BB9_9 Depth=1
	v_add_nc_u32_e32 v0, 7, v32
	global_store_b64 v[3:4], v[0:1], off offset:56
	s_or_b32 exec_lo, exec_lo, s6
	s_and_saveexec_b32 s5, s4
	s_cbranch_execz .LBB9_59
.LBB9_85:                               ;   in Loop: Header=BB9_9 Depth=1
	v_add_nc_u32_e32 v0, 8, v33
	global_store_b64 v[3:4], v[0:1], off offset:64
	s_or_b32 exec_lo, exec_lo, s5
	s_and_saveexec_b32 s4, s3
	s_cbranch_execz .LBB9_60
.LBB9_86:                               ;   in Loop: Header=BB9_9 Depth=1
	v_add_nc_u32_e32 v0, 9, v36
	global_store_b64 v[3:4], v[0:1], off offset:72
	s_or_b32 exec_lo, exec_lo, s4
	s_and_saveexec_b32 s3, s2
	s_cbranch_execz .LBB9_61
.LBB9_87:                               ;   in Loop: Header=BB9_9 Depth=1
	v_add_nc_u32_e32 v0, 10, v38
	global_store_b64 v[3:4], v[0:1], off offset:80
	s_or_b32 exec_lo, exec_lo, s3
	s_and_saveexec_b32 s2, s1
	s_cbranch_execz .LBB9_62
.LBB9_88:                               ;   in Loop: Header=BB9_9 Depth=1
	v_add_nc_u32_e32 v0, 11, v40
	global_store_b64 v[3:4], v[0:1], off offset:88
	s_or_b32 exec_lo, exec_lo, s2
	s_and_saveexec_b32 s1, s0
	s_cbranch_execz .LBB9_63
.LBB9_89:                               ;   in Loop: Header=BB9_9 Depth=1
	v_add_nc_u32_e32 v0, 12, v42
	global_store_b64 v[3:4], v[0:1], off offset:96
	s_or_b32 exec_lo, exec_lo, s1
	s_and_saveexec_b32 s0, vcc_lo
	s_cbranch_execz .LBB9_8
.LBB9_90:                               ;   in Loop: Header=BB9_9 Depth=1
	v_add_nc_u32_e32 v0, 13, v44
	global_store_b64 v[3:4], v[0:1], off offset:104
	s_branch .LBB9_8
.LBB9_91:
	s_nop 0
	s_sendmsg sendmsg(MSG_DEALLOC_VGPRS)
	s_endpgm
	.section	.rodata,"a",@progbits
	.p2align	6, 0x0
	.amdhsa_kernel _Z30block_run_length_decode_kernelIcxLj256ELj1ELj14EEvPKT_PKT0_PS0_PS3_
		.amdhsa_group_segment_fixed_size 1280
		.amdhsa_private_segment_fixed_size 0
		.amdhsa_kernarg_size 32
		.amdhsa_user_sgpr_count 15
		.amdhsa_user_sgpr_dispatch_ptr 0
		.amdhsa_user_sgpr_queue_ptr 0
		.amdhsa_user_sgpr_kernarg_segment_ptr 1
		.amdhsa_user_sgpr_dispatch_id 0
		.amdhsa_user_sgpr_private_segment_size 0
		.amdhsa_wavefront_size32 1
		.amdhsa_uses_dynamic_stack 0
		.amdhsa_enable_private_segment 0
		.amdhsa_system_sgpr_workgroup_id_x 1
		.amdhsa_system_sgpr_workgroup_id_y 0
		.amdhsa_system_sgpr_workgroup_id_z 0
		.amdhsa_system_sgpr_workgroup_info 0
		.amdhsa_system_vgpr_workitem_id 0
		.amdhsa_next_free_vgpr 54
		.amdhsa_next_free_sgpr 20
		.amdhsa_reserve_vcc 1
		.amdhsa_float_round_mode_32 0
		.amdhsa_float_round_mode_16_64 0
		.amdhsa_float_denorm_mode_32 3
		.amdhsa_float_denorm_mode_16_64 3
		.amdhsa_dx10_clamp 1
		.amdhsa_ieee_mode 1
		.amdhsa_fp16_overflow 0
		.amdhsa_workgroup_processor_mode 1
		.amdhsa_memory_ordered 1
		.amdhsa_forward_progress 0
		.amdhsa_shared_vgpr_count 0
		.amdhsa_exception_fp_ieee_invalid_op 0
		.amdhsa_exception_fp_denorm_src 0
		.amdhsa_exception_fp_ieee_div_zero 0
		.amdhsa_exception_fp_ieee_overflow 0
		.amdhsa_exception_fp_ieee_underflow 0
		.amdhsa_exception_fp_ieee_inexact 0
		.amdhsa_exception_int_div_zero 0
	.end_amdhsa_kernel
	.section	.text._Z30block_run_length_decode_kernelIcxLj256ELj1ELj14EEvPKT_PKT0_PS0_PS3_,"axG",@progbits,_Z30block_run_length_decode_kernelIcxLj256ELj1ELj14EEvPKT_PKT0_PS0_PS3_,comdat
.Lfunc_end9:
	.size	_Z30block_run_length_decode_kernelIcxLj256ELj1ELj14EEvPKT_PKT0_PS0_PS3_, .Lfunc_end9-_Z30block_run_length_decode_kernelIcxLj256ELj1ELj14EEvPKT_PKT0_PS0_PS3_
                                        ; -- End function
	.section	.AMDGPU.csdata,"",@progbits
; Kernel info:
; codeLenInByte = 3772
; NumSgprs: 22
; NumVgprs: 54
; ScratchSize: 0
; MemoryBound: 0
; FloatMode: 240
; IeeeMode: 1
; LDSByteSize: 1280 bytes/workgroup (compile time only)
; SGPRBlocks: 2
; VGPRBlocks: 6
; NumSGPRsForWavesPerEU: 22
; NumVGPRsForWavesPerEU: 54
; Occupancy: 16
; WaveLimiterHint : 0
; COMPUTE_PGM_RSRC2:SCRATCH_EN: 0
; COMPUTE_PGM_RSRC2:USER_SGPR: 15
; COMPUTE_PGM_RSRC2:TRAP_HANDLER: 0
; COMPUTE_PGM_RSRC2:TGID_X_EN: 1
; COMPUTE_PGM_RSRC2:TGID_Y_EN: 0
; COMPUTE_PGM_RSRC2:TGID_Z_EN: 0
; COMPUTE_PGM_RSRC2:TIDIG_COMP_CNT: 0
	.section	.text._Z30block_run_length_decode_kernelIdcLj256ELj1ELj14EEvPKT_PKT0_PS0_PS3_,"axG",@progbits,_Z30block_run_length_decode_kernelIdcLj256ELj1ELj14EEvPKT_PKT0_PS0_PS3_,comdat
	.protected	_Z30block_run_length_decode_kernelIdcLj256ELj1ELj14EEvPKT_PKT0_PS0_PS3_ ; -- Begin function _Z30block_run_length_decode_kernelIdcLj256ELj1ELj14EEvPKT_PKT0_PS0_PS3_
	.globl	_Z30block_run_length_decode_kernelIdcLj256ELj1ELj14EEvPKT_PKT0_PS0_PS3_
	.p2align	8
	.type	_Z30block_run_length_decode_kernelIdcLj256ELj1ELj14EEvPKT_PKT0_PS0_PS3_,@function
_Z30block_run_length_decode_kernelIdcLj256ELj1ELj14EEvPKT_PKT0_PS0_PS3_: ; @_Z30block_run_length_decode_kernelIdcLj256ELj1ELj14EEvPKT_PKT0_PS0_PS3_
; %bb.0:
	s_load_b256 s[0:7], s[0:1], 0x0
	v_lshl_or_b32 v1, s15, 8, v0
	v_mbcnt_lo_u32_b32 v4, -1, 0
	v_or_b32_e32 v8, 31, v0
	s_delay_alu instid0(VALU_DEP_2)
	v_and_b32_e32 v6, 15, v4
	s_waitcnt lgkmcnt(0)
	global_load_i8 v5, v1, s[2:3]
	s_waitcnt vmcnt(0)
	v_mov_b32_dpp v7, v5 row_shr:1 row_mask:0xf bank_mask:0xf
	v_mov_b32_e32 v2, 0
	s_delay_alu instid0(VALU_DEP_1) | instskip(NEXT) | instid1(VALU_DEP_1)
	v_lshlrev_b64 v[2:3], 3, v[1:2]
	v_add_co_u32 v2, vcc_lo, s0, v2
	s_delay_alu instid0(VALU_DEP_2)
	v_add_co_ci_u32_e32 v3, vcc_lo, s1, v3, vcc_lo
	v_cmp_ne_u32_e32 vcc_lo, 0, v6
	s_mov_b32 s0, exec_lo
	global_load_b64 v[2:3], v[2:3], off
	v_cndmask_b32_e32 v7, 0, v7, vcc_lo
	v_cmp_lt_u32_e32 vcc_lo, 1, v6
	s_delay_alu instid0(VALU_DEP_2) | instskip(NEXT) | instid1(VALU_DEP_1)
	v_add_nc_u32_e32 v5, v7, v5
	v_mov_b32_dpp v7, v5 row_shr:2 row_mask:0xf bank_mask:0xf
	s_delay_alu instid0(VALU_DEP_1) | instskip(SKIP_1) | instid1(VALU_DEP_2)
	v_cndmask_b32_e32 v7, 0, v7, vcc_lo
	v_cmp_lt_u32_e32 vcc_lo, 3, v6
	v_add_nc_u32_e32 v5, v5, v7
	s_delay_alu instid0(VALU_DEP_1) | instskip(NEXT) | instid1(VALU_DEP_1)
	v_mov_b32_dpp v7, v5 row_shr:4 row_mask:0xf bank_mask:0xf
	v_cndmask_b32_e32 v7, 0, v7, vcc_lo
	v_cmp_lt_u32_e32 vcc_lo, 7, v6
	s_delay_alu instid0(VALU_DEP_2) | instskip(NEXT) | instid1(VALU_DEP_1)
	v_add_nc_u32_e32 v5, v5, v7
	v_mov_b32_dpp v7, v5 row_shr:8 row_mask:0xf bank_mask:0xf
	s_delay_alu instid0(VALU_DEP_1) | instskip(SKIP_1) | instid1(VALU_DEP_2)
	v_cndmask_b32_e32 v6, 0, v7, vcc_lo
	v_bfe_i32 v7, v4, 4, 1
	v_add_nc_u32_e32 v5, v5, v6
	ds_swizzle_b32 v6, v5 offset:swizzle(BROADCAST,32,15)
	s_waitcnt lgkmcnt(0)
	v_and_b32_e32 v6, v7, v6
	v_lshrrev_b32_e32 v7, 5, v0
	s_delay_alu instid0(VALU_DEP_2)
	v_add_nc_u32_e32 v6, v5, v6
	v_cmpx_eq_u32_e64 v8, v0
	s_cbranch_execz .LBB10_2
; %bb.1:
	s_delay_alu instid0(VALU_DEP_3)
	v_lshlrev_b32_e32 v5, 2, v7
	ds_store_b32 v5, v6
.LBB10_2:
	s_or_b32 exec_lo, exec_lo, s0
	v_lshlrev_b32_e32 v5, 2, v0
	s_mov_b32 s0, exec_lo
	s_waitcnt vmcnt(0) lgkmcnt(0)
	s_barrier
	buffer_gl0_inv
	v_cmpx_gt_u32_e32 8, v0
	s_cbranch_execz .LBB10_4
; %bb.3:
	ds_load_b32 v8, v5
	s_waitcnt lgkmcnt(0)
	v_mov_b32_dpp v10, v8 row_shr:1 row_mask:0xf bank_mask:0xf
	v_and_b32_e32 v9, 7, v4
	s_delay_alu instid0(VALU_DEP_1) | instskip(NEXT) | instid1(VALU_DEP_3)
	v_cmp_ne_u32_e32 vcc_lo, 0, v9
	v_cndmask_b32_e32 v10, 0, v10, vcc_lo
	v_cmp_lt_u32_e32 vcc_lo, 1, v9
	s_delay_alu instid0(VALU_DEP_2) | instskip(NEXT) | instid1(VALU_DEP_1)
	v_add_nc_u32_e32 v8, v10, v8
	v_mov_b32_dpp v10, v8 row_shr:2 row_mask:0xf bank_mask:0xf
	s_delay_alu instid0(VALU_DEP_1) | instskip(SKIP_1) | instid1(VALU_DEP_2)
	v_cndmask_b32_e32 v10, 0, v10, vcc_lo
	v_cmp_lt_u32_e32 vcc_lo, 3, v9
	v_add_nc_u32_e32 v8, v8, v10
	s_delay_alu instid0(VALU_DEP_1) | instskip(NEXT) | instid1(VALU_DEP_1)
	v_mov_b32_dpp v10, v8 row_shr:4 row_mask:0xf bank_mask:0xf
	v_cndmask_b32_e32 v9, 0, v10, vcc_lo
	s_delay_alu instid0(VALU_DEP_1)
	v_add_nc_u32_e32 v8, v8, v9
	ds_store_b32 v5, v8
.LBB10_4:
	s_or_b32 exec_lo, exec_lo, s0
	v_dual_mov_b32 v9, 0 :: v_dual_mov_b32 v8, 0
	s_mov_b32 s0, exec_lo
	s_waitcnt lgkmcnt(0)
	s_barrier
	buffer_gl0_inv
	v_cmpx_lt_u32_e32 31, v0
	s_cbranch_execz .LBB10_6
; %bb.5:
	v_lshl_add_u32 v7, v7, 2, -4
	ds_load_b32 v8, v7
.LBB10_6:
	s_or_b32 exec_lo, exec_lo, s0
	v_add_nc_u32_e32 v7, -1, v4
	ds_load_b32 v9, v9 offset:28
	v_cmp_eq_u32_e64 s0, 0, v4
	s_mov_b32 s15, 0
	s_waitcnt lgkmcnt(0)
	v_cmp_gt_i32_e32 vcc_lo, 0, v7
	s_barrier
	buffer_gl0_inv
	v_dual_cndmask_b32 v7, v7, v4 :: v_dual_add_nc_u32 v6, v8, v6
	s_delay_alu instid0(VALU_DEP_1)
	v_lshlrev_b32_e32 v7, 2, v7
	ds_bpermute_b32 v6, v7, v6
	v_cmp_eq_u32_e32 vcc_lo, 0, v9
	v_lshlrev_b32_e32 v7, 3, v0
	v_readfirstlane_b32 s16, v9
	s_and_b32 vcc_lo, exec_lo, vcc_lo
	ds_store_b64 v7, v[2:3]
	s_waitcnt lgkmcnt(1)
	v_cndmask_b32_e64 v4, v6, v8, s0
	ds_store_b32 v5, v4 offset:2048
	s_waitcnt lgkmcnt(0)
	s_barrier
	buffer_gl0_inv
	s_cbranch_vccnz .LBB10_91
; %bb.7:
	v_mul_lo_u32 v1, v1, 14
	v_mov_b32_e32 v2, 0
	v_mul_u32_u24_e32 v0, 14, v0
	s_mov_b32 s17, s16
	s_mov_b32 s14, s15
	s_delay_alu instid0(VALU_DEP_3)
	v_dual_mov_b32 v52, 0x80 :: v_dual_add_nc_u32 v37, 3, v1
	ds_load_b32 v34, v2 offset:2560
	v_lshlrev_b64 v[2:3], 3, v[1:2]
	v_add_co_u32 v50, s0, s6, v1
	v_or_b32_e32 v35, 1, v1
	v_add_nc_u32_e32 v36, 2, v1
	v_add_nc_u32_e32 v38, 4, v1
	v_add_co_u32 v41, vcc_lo, s4, v2
	v_add_nc_u32_e32 v39, 5, v1
	v_add_nc_u32_e32 v40, 6, v1
	v_add_co_ci_u32_e32 v42, vcc_lo, s5, v3, vcc_lo
	v_add_nc_u32_e32 v43, 7, v1
	v_add_nc_u32_e32 v44, 8, v1
	;; [unrolled: 1-line block ×7, first 2 shown]
	v_add_co_ci_u32_e64 v51, null, s7, 0, s0
	s_branch .LBB10_9
.LBB10_8:                               ;   in Loop: Header=BB10_9 Depth=1
	s_or_b32 exec_lo, exec_lo, s0
	s_addk_i32 s14, 0xe00
	s_addk_i32 s17, 0xf200
	s_cmp_lt_u32 s14, s16
	s_cbranch_scc0 .LBB10_91
.LBB10_9:                               ; =>This Inner Loop Header: Depth=1
	v_add_nc_u32_e32 v32, s14, v0
	s_waitcnt lgkmcnt(0)
	s_delay_alu instid0(VALU_DEP_1) | instskip(SKIP_2) | instid1(VALU_DEP_2)
	v_cmp_gt_u32_e32 vcc_lo, v34, v32
	v_cndmask_b32_e64 v3, 0xc0, 64, vcc_lo
	v_cndmask_b32_e64 v2, 0x81, 0, vcc_lo
	v_dual_cndmask_b32 v5, 0x100, v52 :: v_dual_lshlrev_b32 v4, 2, v3
	v_or_b32_e32 v6, 1, v3
	ds_load_b32 v4, v4 offset:2048
	s_waitcnt lgkmcnt(0)
	v_cmp_gt_u32_e32 vcc_lo, v4, v32
	v_dual_cndmask_b32 v2, v6, v2 :: v_dual_cndmask_b32 v3, v5, v3
	s_delay_alu instid0(VALU_DEP_1) | instskip(NEXT) | instid1(VALU_DEP_1)
	v_sub_nc_u32_e32 v4, v3, v2
	v_lshrrev_b16 v5, 15, v4
	s_delay_alu instid0(VALU_DEP_1) | instskip(NEXT) | instid1(VALU_DEP_1)
	v_add_nc_u16 v4, v4, v5
	v_ashrrev_i16 v4, 1, v4
	s_delay_alu instid0(VALU_DEP_1) | instskip(NEXT) | instid1(VALU_DEP_1)
	v_bfe_i32 v4, v4, 0, 16
	v_add_nc_u32_e32 v4, v2, v4
	s_delay_alu instid0(VALU_DEP_1) | instskip(NEXT) | instid1(VALU_DEP_1)
	v_min_i32_e32 v4, 0xff, v4
	v_lshlrev_b32_e32 v5, 2, v4
	v_add_nc_u32_e32 v6, 1, v4
	ds_load_b32 v5, v5 offset:2048
	s_waitcnt lgkmcnt(0)
	v_cmp_gt_u32_e32 vcc_lo, v5, v32
	v_dual_cndmask_b32 v2, v6, v2 :: v_dual_cndmask_b32 v3, v3, v4
	s_delay_alu instid0(VALU_DEP_1) | instskip(NEXT) | instid1(VALU_DEP_1)
	v_sub_nc_u32_e32 v4, v3, v2
	v_lshrrev_b16 v5, 15, v4
	s_delay_alu instid0(VALU_DEP_1) | instskip(NEXT) | instid1(VALU_DEP_1)
	v_add_nc_u16 v4, v4, v5
	v_ashrrev_i16 v4, 1, v4
	s_delay_alu instid0(VALU_DEP_1) | instskip(NEXT) | instid1(VALU_DEP_1)
	v_bfe_i32 v4, v4, 0, 16
	v_add_nc_u32_e32 v4, v2, v4
	s_delay_alu instid0(VALU_DEP_1) | instskip(NEXT) | instid1(VALU_DEP_1)
	v_min_i32_e32 v4, 0xff, v4
	v_add_nc_u32_e32 v6, 1, v4
	v_lshlrev_b32_e32 v5, 2, v4
	ds_load_b32 v5, v5 offset:2048
	s_waitcnt lgkmcnt(0)
	v_cmp_gt_u32_e32 vcc_lo, v5, v32
	v_dual_cndmask_b32 v2, v6, v2 :: v_dual_cndmask_b32 v3, v3, v4
	s_delay_alu instid0(VALU_DEP_1) | instskip(NEXT) | instid1(VALU_DEP_1)
	v_sub_nc_u32_e32 v4, v3, v2
	v_lshrrev_b16 v5, 15, v4
	s_delay_alu instid0(VALU_DEP_1) | instskip(NEXT) | instid1(VALU_DEP_1)
	v_add_nc_u16 v4, v4, v5
	v_ashrrev_i16 v4, 1, v4
	s_delay_alu instid0(VALU_DEP_1) | instskip(NEXT) | instid1(VALU_DEP_1)
	v_bfe_i32 v4, v4, 0, 16
	v_add_nc_u32_e32 v4, v2, v4
	s_delay_alu instid0(VALU_DEP_1) | instskip(NEXT) | instid1(VALU_DEP_1)
	v_min_i32_e32 v4, 0xff, v4
	v_lshlrev_b32_e32 v5, 2, v4
	v_add_nc_u32_e32 v6, 1, v4
	ds_load_b32 v5, v5 offset:2048
	s_waitcnt lgkmcnt(0)
	v_cmp_gt_u32_e32 vcc_lo, v5, v32
	v_dual_cndmask_b32 v2, v6, v2 :: v_dual_cndmask_b32 v3, v3, v4
	s_delay_alu instid0(VALU_DEP_1) | instskip(NEXT) | instid1(VALU_DEP_1)
	v_sub_nc_u32_e32 v4, v3, v2
	v_lshrrev_b16 v5, 15, v4
	s_delay_alu instid0(VALU_DEP_1) | instskip(NEXT) | instid1(VALU_DEP_1)
	v_add_nc_u16 v4, v4, v5
	v_ashrrev_i16 v4, 1, v4
	s_delay_alu instid0(VALU_DEP_1) | instskip(NEXT) | instid1(VALU_DEP_1)
	v_bfe_i32 v4, v4, 0, 16
	v_add_nc_u32_e32 v4, v2, v4
	s_delay_alu instid0(VALU_DEP_1) | instskip(NEXT) | instid1(VALU_DEP_1)
	v_min_i32_e32 v4, 0xff, v4
	v_lshlrev_b32_e32 v5, 2, v4
	v_add_nc_u32_e32 v6, 1, v4
	;; [unrolled: 17-line block ×4, first 2 shown]
	ds_load_b32 v5, v5 offset:2048
	s_waitcnt lgkmcnt(0)
	v_cmp_gt_u32_e32 vcc_lo, v5, v32
	v_dual_cndmask_b32 v2, v6, v2 :: v_dual_cndmask_b32 v3, v3, v4
	v_add_nc_u32_e32 v6, 1, v32
	s_delay_alu instid0(VALU_DEP_2) | instskip(NEXT) | instid1(VALU_DEP_1)
	v_sub_nc_u32_e32 v3, v3, v2
	v_lshrrev_b16 v4, 15, v3
	s_delay_alu instid0(VALU_DEP_1) | instskip(NEXT) | instid1(VALU_DEP_1)
	v_add_nc_u16 v3, v3, v4
	v_ashrrev_i16 v3, 1, v3
	s_delay_alu instid0(VALU_DEP_1) | instskip(NEXT) | instid1(VALU_DEP_1)
	v_bfe_i32 v3, v3, 0, 16
	v_add_nc_u32_e32 v3, v2, v3
	s_delay_alu instid0(VALU_DEP_1) | instskip(NEXT) | instid1(VALU_DEP_1)
	v_min_i32_e32 v3, 0xff, v3
	v_lshlrev_b32_e32 v4, 2, v3
	v_add_nc_u32_e32 v3, 1, v3
	ds_load_b32 v4, v4 offset:2048
	s_waitcnt lgkmcnt(0)
	v_cmp_gt_u32_e32 vcc_lo, v4, v32
	v_cndmask_b32_e32 v33, v3, v2, vcc_lo
	s_delay_alu instid0(VALU_DEP_1) | instskip(SKIP_1) | instid1(VALU_DEP_2)
	v_lshlrev_b32_e32 v8, 2, v33
	v_lshl_add_u32 v4, v33, 3, -8
	v_add_nc_u32_e32 v2, 0x7fc, v8
	ds_load_2addr_b32 v[2:3], v2 offset1:1
	ds_load_b64 v[4:5], v4
	s_waitcnt lgkmcnt(1)
	v_cmp_eq_u32_e32 vcc_lo, v6, v3
	s_waitcnt lgkmcnt(0)
	v_mov_b32_e32 v7, v5
	v_dual_mov_b32 v9, v2 :: v_dual_mov_b32 v6, v4
	s_and_saveexec_b32 s0, vcc_lo
	s_cbranch_execz .LBB10_11
; %bb.10:                               ;   in Loop: Header=BB10_9 Depth=1
	v_dual_mov_b32 v9, v3 :: v_dual_lshlrev_b32 v6, 3, v33
	v_add_nc_u32_e32 v33, 1, v33
	ds_load_b32 v8, v8 offset:2052
	ds_load_b64 v[6:7], v6
	s_waitcnt lgkmcnt(1)
	v_mov_b32_e32 v3, v8
.LBB10_11:                              ;   in Loop: Header=BB10_9 Depth=1
	s_or_b32 exec_lo, exec_lo, s0
	s_delay_alu instid0(VALU_DEP_1) | instskip(NEXT) | instid1(VALU_DEP_1)
	v_sub_nc_u32_e32 v54, v32, v9
	v_dual_mov_b32 v53, v54 :: v_dual_add_nc_u32 v8, 2, v32
	s_delay_alu instid0(VALU_DEP_1)
	v_cmp_eq_u32_e32 vcc_lo, v8, v3
	s_waitcnt lgkmcnt(0)
	v_dual_mov_b32 v9, v7 :: v_dual_mov_b32 v8, v6
	s_and_saveexec_b32 s0, vcc_lo
	s_cbranch_execz .LBB10_13
; %bb.12:                               ;   in Loop: Header=BB10_9 Depth=1
	v_add_nc_u32_e32 v10, 1, v33
	v_lshlrev_b32_e32 v9, 3, v33
	v_sub_nc_u32_e32 v53, v32, v3
	s_delay_alu instid0(VALU_DEP_3)
	v_lshlrev_b32_e32 v8, 2, v10
	ds_load_b32 v11, v8 offset:2048
	ds_load_b64 v[8:9], v9
	s_waitcnt lgkmcnt(1)
	v_mov_b32_e32 v3, v11
	v_mov_b32_e32 v33, v10
.LBB10_13:                              ;   in Loop: Header=BB10_9 Depth=1
	s_or_b32 exec_lo, exec_lo, s0
	v_dual_mov_b32 v55, v53 :: v_dual_add_nc_u32 v10, 3, v32
	s_delay_alu instid0(VALU_DEP_1)
	v_cmp_eq_u32_e32 vcc_lo, v10, v3
	s_waitcnt lgkmcnt(0)
	v_dual_mov_b32 v11, v9 :: v_dual_mov_b32 v10, v8
	s_and_saveexec_b32 s0, vcc_lo
	s_cbranch_execz .LBB10_15
; %bb.14:                               ;   in Loop: Header=BB10_9 Depth=1
	v_lshl_add_u32 v3, v33, 2, 0x800
	ds_load_2addr_b32 v[12:13], v3 offset1:1
	v_lshlrev_b32_e32 v3, 3, v33
	v_add_nc_u32_e32 v33, 1, v33
	ds_load_b64 v[10:11], v3
	s_waitcnt lgkmcnt(1)
	v_sub_nc_u32_e32 v55, v32, v12
	v_mov_b32_e32 v3, v13
.LBB10_15:                              ;   in Loop: Header=BB10_9 Depth=1
	s_or_b32 exec_lo, exec_lo, s0
	v_add_nc_u32_e32 v12, 4, v32
	s_delay_alu instid0(VALU_DEP_3) | instskip(NEXT) | instid1(VALU_DEP_2)
	v_mov_b32_e32 v56, v55
	v_cmp_eq_u32_e32 vcc_lo, v12, v3
	s_waitcnt lgkmcnt(0)
	v_dual_mov_b32 v13, v11 :: v_dual_mov_b32 v12, v10
	s_and_saveexec_b32 s0, vcc_lo
	s_cbranch_execz .LBB10_17
; %bb.16:                               ;   in Loop: Header=BB10_9 Depth=1
	v_lshl_add_u32 v3, v33, 2, 0x800
	ds_load_2addr_b32 v[14:15], v3 offset1:1
	v_lshlrev_b32_e32 v3, 3, v33
	v_add_nc_u32_e32 v33, 1, v33
	ds_load_b64 v[12:13], v3
	s_waitcnt lgkmcnt(1)
	v_sub_nc_u32_e32 v56, v32, v14
	v_mov_b32_e32 v3, v15
.LBB10_17:                              ;   in Loop: Header=BB10_9 Depth=1
	s_or_b32 exec_lo, exec_lo, s0
	s_delay_alu instid0(VALU_DEP_2) | instskip(NEXT) | instid1(VALU_DEP_1)
	v_dual_mov_b32 v57, v56 :: v_dual_add_nc_u32 v14, 5, v32
	v_cmp_eq_u32_e32 vcc_lo, v14, v3
	s_waitcnt lgkmcnt(0)
	v_dual_mov_b32 v15, v13 :: v_dual_mov_b32 v14, v12
	s_and_saveexec_b32 s0, vcc_lo
	s_cbranch_execz .LBB10_19
; %bb.18:                               ;   in Loop: Header=BB10_9 Depth=1
	v_lshl_add_u32 v3, v33, 2, 0x800
	ds_load_2addr_b32 v[16:17], v3 offset1:1
	v_lshlrev_b32_e32 v3, 3, v33
	v_add_nc_u32_e32 v33, 1, v33
	ds_load_b64 v[14:15], v3
	s_waitcnt lgkmcnt(1)
	v_sub_nc_u32_e32 v57, v32, v16
	v_mov_b32_e32 v3, v17
.LBB10_19:                              ;   in Loop: Header=BB10_9 Depth=1
	s_or_b32 exec_lo, exec_lo, s0
	v_add_nc_u32_e32 v16, 6, v32
	s_delay_alu instid0(VALU_DEP_3) | instskip(NEXT) | instid1(VALU_DEP_2)
	v_mov_b32_e32 v58, v57
	v_cmp_eq_u32_e32 vcc_lo, v16, v3
	s_waitcnt lgkmcnt(0)
	v_dual_mov_b32 v17, v15 :: v_dual_mov_b32 v16, v14
	s_and_saveexec_b32 s0, vcc_lo
	s_cbranch_execz .LBB10_21
; %bb.20:                               ;   in Loop: Header=BB10_9 Depth=1
	v_lshl_add_u32 v3, v33, 2, 0x800
	ds_load_2addr_b32 v[18:19], v3 offset1:1
	v_lshlrev_b32_e32 v3, 3, v33
	v_add_nc_u32_e32 v33, 1, v33
	ds_load_b64 v[16:17], v3
	s_waitcnt lgkmcnt(1)
	v_sub_nc_u32_e32 v58, v32, v18
	v_mov_b32_e32 v3, v19
.LBB10_21:                              ;   in Loop: Header=BB10_9 Depth=1
	s_or_b32 exec_lo, exec_lo, s0
	s_delay_alu instid0(VALU_DEP_2) | instskip(NEXT) | instid1(VALU_DEP_1)
	v_dual_mov_b32 v59, v58 :: v_dual_add_nc_u32 v18, 7, v32
	;; [unrolled: 37-line block ×5, first 2 shown]
	v_cmp_eq_u32_e32 vcc_lo, v30, v3
	s_waitcnt lgkmcnt(0)
	v_dual_mov_b32 v31, v29 :: v_dual_mov_b32 v30, v28
	s_and_saveexec_b32 s0, vcc_lo
	s_cbranch_execz .LBB10_35
; %bb.34:                               ;   in Loop: Header=BB10_9 Depth=1
	v_lshlrev_b32_e32 v3, 2, v33
	v_lshlrev_b32_e32 v30, 3, v33
	ds_load_b32 v3, v3 offset:2048
	ds_load_b64 v[30:31], v30
	s_waitcnt lgkmcnt(1)
	v_sub_nc_u32_e32 v65, v32, v3
.LBB10_35:                              ;   in Loop: Header=BB10_9 Depth=1
	s_or_b32 exec_lo, exec_lo, s0
	s_lshl_b64 s[0:1], s[14:15], 3
	s_min_u32 s12, s17, 0xe00
	v_add_co_u32 v32, vcc_lo, v41, s0
	v_add_co_ci_u32_e32 v33, vcc_lo, s1, v42, vcc_lo
	v_cmp_gt_u32_e32 vcc_lo, s12, v1
	s_and_saveexec_b32 s0, vcc_lo
	s_cbranch_execnz .LBB10_64
; %bb.36:                               ;   in Loop: Header=BB10_9 Depth=1
	s_or_b32 exec_lo, exec_lo, s0
	v_cmp_gt_u32_e64 s0, s12, v35
	s_delay_alu instid0(VALU_DEP_1)
	s_and_saveexec_b32 s1, s0
	s_cbranch_execnz .LBB10_65
.LBB10_37:                              ;   in Loop: Header=BB10_9 Depth=1
	s_or_b32 exec_lo, exec_lo, s1
	v_cmp_gt_u32_e64 s1, s12, v36
	s_delay_alu instid0(VALU_DEP_1)
	s_and_saveexec_b32 s2, s1
	s_cbranch_execnz .LBB10_66
.LBB10_38:                              ;   in Loop: Header=BB10_9 Depth=1
	s_or_b32 exec_lo, exec_lo, s2
	v_cmp_gt_u32_e64 s2, s12, v37
	s_delay_alu instid0(VALU_DEP_1)
	s_and_saveexec_b32 s3, s2
	s_cbranch_execnz .LBB10_67
.LBB10_39:                              ;   in Loop: Header=BB10_9 Depth=1
	s_or_b32 exec_lo, exec_lo, s3
	v_cmp_gt_u32_e64 s3, s12, v38
	s_delay_alu instid0(VALU_DEP_1)
	s_and_saveexec_b32 s4, s3
	s_cbranch_execnz .LBB10_68
.LBB10_40:                              ;   in Loop: Header=BB10_9 Depth=1
	s_or_b32 exec_lo, exec_lo, s4
	v_cmp_gt_u32_e64 s4, s12, v39
	s_delay_alu instid0(VALU_DEP_1)
	s_and_saveexec_b32 s5, s4
	s_cbranch_execnz .LBB10_69
.LBB10_41:                              ;   in Loop: Header=BB10_9 Depth=1
	s_or_b32 exec_lo, exec_lo, s5
	v_cmp_gt_u32_e64 s5, s12, v40
	s_delay_alu instid0(VALU_DEP_1)
	s_and_saveexec_b32 s6, s5
	s_cbranch_execnz .LBB10_70
.LBB10_42:                              ;   in Loop: Header=BB10_9 Depth=1
	s_or_b32 exec_lo, exec_lo, s6
	v_cmp_gt_u32_e64 s6, s12, v43
	s_delay_alu instid0(VALU_DEP_1)
	s_and_saveexec_b32 s7, s6
	s_cbranch_execnz .LBB10_71
.LBB10_43:                              ;   in Loop: Header=BB10_9 Depth=1
	s_or_b32 exec_lo, exec_lo, s7
	v_cmp_gt_u32_e64 s7, s12, v44
	s_delay_alu instid0(VALU_DEP_1)
	s_and_saveexec_b32 s8, s7
	s_cbranch_execnz .LBB10_72
.LBB10_44:                              ;   in Loop: Header=BB10_9 Depth=1
	s_or_b32 exec_lo, exec_lo, s8
	v_cmp_gt_u32_e64 s8, s12, v45
	s_delay_alu instid0(VALU_DEP_1)
	s_and_saveexec_b32 s9, s8
	s_cbranch_execnz .LBB10_73
.LBB10_45:                              ;   in Loop: Header=BB10_9 Depth=1
	s_or_b32 exec_lo, exec_lo, s9
	v_cmp_gt_u32_e64 s9, s12, v46
	s_delay_alu instid0(VALU_DEP_1)
	s_and_saveexec_b32 s10, s9
	s_cbranch_execnz .LBB10_74
.LBB10_46:                              ;   in Loop: Header=BB10_9 Depth=1
	s_or_b32 exec_lo, exec_lo, s10
	v_cmp_gt_u32_e64 s10, s12, v47
	s_delay_alu instid0(VALU_DEP_1)
	s_and_saveexec_b32 s11, s10
	s_cbranch_execnz .LBB10_75
.LBB10_47:                              ;   in Loop: Header=BB10_9 Depth=1
	s_or_b32 exec_lo, exec_lo, s11
	v_cmp_gt_u32_e64 s11, s12, v48
	s_delay_alu instid0(VALU_DEP_1)
	s_and_saveexec_b32 s13, s11
	s_cbranch_execnz .LBB10_76
.LBB10_48:                              ;   in Loop: Header=BB10_9 Depth=1
	s_or_b32 exec_lo, exec_lo, s13
	v_cmp_gt_u32_e64 s12, s12, v49
	s_delay_alu instid0(VALU_DEP_1)
	s_and_saveexec_b32 s13, s12
	s_cbranch_execz .LBB10_50
.LBB10_49:                              ;   in Loop: Header=BB10_9 Depth=1
	s_waitcnt lgkmcnt(0)
	global_store_b64 v[32:33], v[30:31], off offset:104
.LBB10_50:                              ;   in Loop: Header=BB10_9 Depth=1
	s_or_b32 exec_lo, exec_lo, s13
	v_add_co_u32 v3, s13, v50, s14
	s_delay_alu instid0(VALU_DEP_1)
	v_add_co_ci_u32_e64 v4, s13, 0, v51, s13
	s_and_saveexec_b32 s13, vcc_lo
	s_cbranch_execnz .LBB10_77
; %bb.51:                               ;   in Loop: Header=BB10_9 Depth=1
	s_or_b32 exec_lo, exec_lo, s13
	s_and_saveexec_b32 s13, s0
	s_cbranch_execnz .LBB10_78
.LBB10_52:                              ;   in Loop: Header=BB10_9 Depth=1
	s_or_b32 exec_lo, exec_lo, s13
	s_and_saveexec_b32 s0, s1
	s_cbranch_execnz .LBB10_79
.LBB10_53:                              ;   in Loop: Header=BB10_9 Depth=1
	s_or_b32 exec_lo, exec_lo, s0
	s_and_saveexec_b32 s0, s2
	s_cbranch_execnz .LBB10_80
.LBB10_54:                              ;   in Loop: Header=BB10_9 Depth=1
	s_or_b32 exec_lo, exec_lo, s0
	s_and_saveexec_b32 s0, s3
	s_cbranch_execnz .LBB10_81
.LBB10_55:                              ;   in Loop: Header=BB10_9 Depth=1
	s_or_b32 exec_lo, exec_lo, s0
	s_and_saveexec_b32 s0, s4
	s_cbranch_execnz .LBB10_82
.LBB10_56:                              ;   in Loop: Header=BB10_9 Depth=1
	s_or_b32 exec_lo, exec_lo, s0
	s_and_saveexec_b32 s0, s5
	s_cbranch_execnz .LBB10_83
.LBB10_57:                              ;   in Loop: Header=BB10_9 Depth=1
	s_or_b32 exec_lo, exec_lo, s0
	s_and_saveexec_b32 s0, s6
	s_cbranch_execnz .LBB10_84
.LBB10_58:                              ;   in Loop: Header=BB10_9 Depth=1
	s_or_b32 exec_lo, exec_lo, s0
	s_and_saveexec_b32 s0, s7
	s_cbranch_execnz .LBB10_85
.LBB10_59:                              ;   in Loop: Header=BB10_9 Depth=1
	s_or_b32 exec_lo, exec_lo, s0
	s_and_saveexec_b32 s0, s8
	s_cbranch_execnz .LBB10_86
.LBB10_60:                              ;   in Loop: Header=BB10_9 Depth=1
	s_or_b32 exec_lo, exec_lo, s0
	s_and_saveexec_b32 s0, s9
	s_cbranch_execnz .LBB10_87
.LBB10_61:                              ;   in Loop: Header=BB10_9 Depth=1
	s_or_b32 exec_lo, exec_lo, s0
	s_and_saveexec_b32 s0, s10
	s_cbranch_execnz .LBB10_88
.LBB10_62:                              ;   in Loop: Header=BB10_9 Depth=1
	s_or_b32 exec_lo, exec_lo, s0
	s_and_saveexec_b32 s0, s11
	s_cbranch_execnz .LBB10_89
.LBB10_63:                              ;   in Loop: Header=BB10_9 Depth=1
	s_or_b32 exec_lo, exec_lo, s0
	s_and_saveexec_b32 s0, s12
	s_cbranch_execz .LBB10_8
	s_branch .LBB10_90
.LBB10_64:                              ;   in Loop: Header=BB10_9 Depth=1
	global_store_b64 v[32:33], v[4:5], off
	s_or_b32 exec_lo, exec_lo, s0
	v_cmp_gt_u32_e64 s0, s12, v35
	s_delay_alu instid0(VALU_DEP_1)
	s_and_saveexec_b32 s1, s0
	s_cbranch_execz .LBB10_37
.LBB10_65:                              ;   in Loop: Header=BB10_9 Depth=1
	global_store_b64 v[32:33], v[6:7], off offset:8
	s_or_b32 exec_lo, exec_lo, s1
	v_cmp_gt_u32_e64 s1, s12, v36
	s_delay_alu instid0(VALU_DEP_1)
	s_and_saveexec_b32 s2, s1
	s_cbranch_execz .LBB10_38
.LBB10_66:                              ;   in Loop: Header=BB10_9 Depth=1
	global_store_b64 v[32:33], v[8:9], off offset:16
	s_or_b32 exec_lo, exec_lo, s2
	v_cmp_gt_u32_e64 s2, s12, v37
	s_delay_alu instid0(VALU_DEP_1)
	s_and_saveexec_b32 s3, s2
	s_cbranch_execz .LBB10_39
.LBB10_67:                              ;   in Loop: Header=BB10_9 Depth=1
	global_store_b64 v[32:33], v[10:11], off offset:24
	s_or_b32 exec_lo, exec_lo, s3
	v_cmp_gt_u32_e64 s3, s12, v38
	s_delay_alu instid0(VALU_DEP_1)
	s_and_saveexec_b32 s4, s3
	s_cbranch_execz .LBB10_40
.LBB10_68:                              ;   in Loop: Header=BB10_9 Depth=1
	global_store_b64 v[32:33], v[12:13], off offset:32
	s_or_b32 exec_lo, exec_lo, s4
	v_cmp_gt_u32_e64 s4, s12, v39
	s_delay_alu instid0(VALU_DEP_1)
	s_and_saveexec_b32 s5, s4
	s_cbranch_execz .LBB10_41
.LBB10_69:                              ;   in Loop: Header=BB10_9 Depth=1
	global_store_b64 v[32:33], v[14:15], off offset:40
	s_or_b32 exec_lo, exec_lo, s5
	v_cmp_gt_u32_e64 s5, s12, v40
	s_delay_alu instid0(VALU_DEP_1)
	s_and_saveexec_b32 s6, s5
	s_cbranch_execz .LBB10_42
.LBB10_70:                              ;   in Loop: Header=BB10_9 Depth=1
	global_store_b64 v[32:33], v[16:17], off offset:48
	s_or_b32 exec_lo, exec_lo, s6
	v_cmp_gt_u32_e64 s6, s12, v43
	s_delay_alu instid0(VALU_DEP_1)
	s_and_saveexec_b32 s7, s6
	s_cbranch_execz .LBB10_43
.LBB10_71:                              ;   in Loop: Header=BB10_9 Depth=1
	global_store_b64 v[32:33], v[18:19], off offset:56
	s_or_b32 exec_lo, exec_lo, s7
	v_cmp_gt_u32_e64 s7, s12, v44
	s_delay_alu instid0(VALU_DEP_1)
	s_and_saveexec_b32 s8, s7
	s_cbranch_execz .LBB10_44
.LBB10_72:                              ;   in Loop: Header=BB10_9 Depth=1
	global_store_b64 v[32:33], v[20:21], off offset:64
	s_or_b32 exec_lo, exec_lo, s8
	v_cmp_gt_u32_e64 s8, s12, v45
	s_delay_alu instid0(VALU_DEP_1)
	s_and_saveexec_b32 s9, s8
	s_cbranch_execz .LBB10_45
.LBB10_73:                              ;   in Loop: Header=BB10_9 Depth=1
	global_store_b64 v[32:33], v[22:23], off offset:72
	s_or_b32 exec_lo, exec_lo, s9
	v_cmp_gt_u32_e64 s9, s12, v46
	s_delay_alu instid0(VALU_DEP_1)
	s_and_saveexec_b32 s10, s9
	s_cbranch_execz .LBB10_46
.LBB10_74:                              ;   in Loop: Header=BB10_9 Depth=1
	global_store_b64 v[32:33], v[24:25], off offset:80
	s_or_b32 exec_lo, exec_lo, s10
	v_cmp_gt_u32_e64 s10, s12, v47
	s_delay_alu instid0(VALU_DEP_1)
	s_and_saveexec_b32 s11, s10
	s_cbranch_execz .LBB10_47
.LBB10_75:                              ;   in Loop: Header=BB10_9 Depth=1
	global_store_b64 v[32:33], v[26:27], off offset:88
	s_or_b32 exec_lo, exec_lo, s11
	v_cmp_gt_u32_e64 s11, s12, v48
	s_delay_alu instid0(VALU_DEP_1)
	s_and_saveexec_b32 s13, s11
	s_cbranch_execz .LBB10_48
.LBB10_76:                              ;   in Loop: Header=BB10_9 Depth=1
	global_store_b64 v[32:33], v[28:29], off offset:96
	s_or_b32 exec_lo, exec_lo, s13
	v_cmp_gt_u32_e64 s12, s12, v49
	s_delay_alu instid0(VALU_DEP_1)
	s_and_saveexec_b32 s13, s12
	s_cbranch_execnz .LBB10_49
	s_branch .LBB10_50
.LBB10_77:                              ;   in Loop: Header=BB10_9 Depth=1
	v_sub_nc_u32_e32 v2, v0, v2
	global_store_b8 v[3:4], v2, off
	s_or_b32 exec_lo, exec_lo, s13
	s_and_saveexec_b32 s13, s0
	s_cbranch_execz .LBB10_52
.LBB10_78:                              ;   in Loop: Header=BB10_9 Depth=1
	v_add_nc_u32_e32 v2, 1, v54
	global_store_b8 v[3:4], v2, off offset:1
	s_or_b32 exec_lo, exec_lo, s13
	s_and_saveexec_b32 s0, s1
	s_cbranch_execz .LBB10_53
.LBB10_79:                              ;   in Loop: Header=BB10_9 Depth=1
	v_add_nc_u32_e32 v2, 2, v53
	global_store_b8 v[3:4], v2, off offset:2
	s_or_b32 exec_lo, exec_lo, s0
	s_and_saveexec_b32 s0, s2
	s_cbranch_execz .LBB10_54
.LBB10_80:                              ;   in Loop: Header=BB10_9 Depth=1
	v_add_nc_u32_e32 v2, 3, v55
	global_store_b8 v[3:4], v2, off offset:3
	s_or_b32 exec_lo, exec_lo, s0
	s_and_saveexec_b32 s0, s3
	s_cbranch_execz .LBB10_55
.LBB10_81:                              ;   in Loop: Header=BB10_9 Depth=1
	v_add_nc_u32_e32 v2, 4, v56
	global_store_b8 v[3:4], v2, off offset:4
	s_or_b32 exec_lo, exec_lo, s0
	s_and_saveexec_b32 s0, s4
	s_cbranch_execz .LBB10_56
.LBB10_82:                              ;   in Loop: Header=BB10_9 Depth=1
	v_add_nc_u32_e32 v2, 5, v57
	global_store_b8 v[3:4], v2, off offset:5
	s_or_b32 exec_lo, exec_lo, s0
	s_and_saveexec_b32 s0, s5
	s_cbranch_execz .LBB10_57
.LBB10_83:                              ;   in Loop: Header=BB10_9 Depth=1
	v_add_nc_u32_e32 v2, 6, v58
	global_store_b8 v[3:4], v2, off offset:6
	s_or_b32 exec_lo, exec_lo, s0
	s_and_saveexec_b32 s0, s6
	s_cbranch_execz .LBB10_58
.LBB10_84:                              ;   in Loop: Header=BB10_9 Depth=1
	v_add_nc_u32_e32 v2, 7, v59
	global_store_b8 v[3:4], v2, off offset:7
	s_or_b32 exec_lo, exec_lo, s0
	s_and_saveexec_b32 s0, s7
	s_cbranch_execz .LBB10_59
.LBB10_85:                              ;   in Loop: Header=BB10_9 Depth=1
	v_add_nc_u32_e32 v2, 8, v60
	global_store_b8 v[3:4], v2, off offset:8
	s_or_b32 exec_lo, exec_lo, s0
	s_and_saveexec_b32 s0, s8
	s_cbranch_execz .LBB10_60
.LBB10_86:                              ;   in Loop: Header=BB10_9 Depth=1
	v_add_nc_u32_e32 v2, 9, v61
	global_store_b8 v[3:4], v2, off offset:9
	s_or_b32 exec_lo, exec_lo, s0
	s_and_saveexec_b32 s0, s9
	s_cbranch_execz .LBB10_61
.LBB10_87:                              ;   in Loop: Header=BB10_9 Depth=1
	v_add_nc_u32_e32 v2, 10, v62
	global_store_b8 v[3:4], v2, off offset:10
	s_or_b32 exec_lo, exec_lo, s0
	s_and_saveexec_b32 s0, s10
	s_cbranch_execz .LBB10_62
.LBB10_88:                              ;   in Loop: Header=BB10_9 Depth=1
	v_add_nc_u32_e32 v2, 11, v63
	global_store_b8 v[3:4], v2, off offset:11
	s_or_b32 exec_lo, exec_lo, s0
	s_and_saveexec_b32 s0, s11
	s_cbranch_execz .LBB10_63
.LBB10_89:                              ;   in Loop: Header=BB10_9 Depth=1
	v_add_nc_u32_e32 v2, 12, v64
	global_store_b8 v[3:4], v2, off offset:12
	s_or_b32 exec_lo, exec_lo, s0
	s_and_saveexec_b32 s0, s12
	s_cbranch_execz .LBB10_8
.LBB10_90:                              ;   in Loop: Header=BB10_9 Depth=1
	v_add_nc_u32_e32 v2, 13, v65
	global_store_b8 v[3:4], v2, off offset:13
	s_branch .LBB10_8
.LBB10_91:
	s_nop 0
	s_sendmsg sendmsg(MSG_DEALLOC_VGPRS)
	s_endpgm
	.section	.rodata,"a",@progbits
	.p2align	6, 0x0
	.amdhsa_kernel _Z30block_run_length_decode_kernelIdcLj256ELj1ELj14EEvPKT_PKT0_PS0_PS3_
		.amdhsa_group_segment_fixed_size 3072
		.amdhsa_private_segment_fixed_size 0
		.amdhsa_kernarg_size 32
		.amdhsa_user_sgpr_count 15
		.amdhsa_user_sgpr_dispatch_ptr 0
		.amdhsa_user_sgpr_queue_ptr 0
		.amdhsa_user_sgpr_kernarg_segment_ptr 1
		.amdhsa_user_sgpr_dispatch_id 0
		.amdhsa_user_sgpr_private_segment_size 0
		.amdhsa_wavefront_size32 1
		.amdhsa_uses_dynamic_stack 0
		.amdhsa_enable_private_segment 0
		.amdhsa_system_sgpr_workgroup_id_x 1
		.amdhsa_system_sgpr_workgroup_id_y 0
		.amdhsa_system_sgpr_workgroup_id_z 0
		.amdhsa_system_sgpr_workgroup_info 0
		.amdhsa_system_vgpr_workitem_id 0
		.amdhsa_next_free_vgpr 66
		.amdhsa_next_free_sgpr 18
		.amdhsa_reserve_vcc 1
		.amdhsa_float_round_mode_32 0
		.amdhsa_float_round_mode_16_64 0
		.amdhsa_float_denorm_mode_32 3
		.amdhsa_float_denorm_mode_16_64 3
		.amdhsa_dx10_clamp 1
		.amdhsa_ieee_mode 1
		.amdhsa_fp16_overflow 0
		.amdhsa_workgroup_processor_mode 1
		.amdhsa_memory_ordered 1
		.amdhsa_forward_progress 0
		.amdhsa_shared_vgpr_count 0
		.amdhsa_exception_fp_ieee_invalid_op 0
		.amdhsa_exception_fp_denorm_src 0
		.amdhsa_exception_fp_ieee_div_zero 0
		.amdhsa_exception_fp_ieee_overflow 0
		.amdhsa_exception_fp_ieee_underflow 0
		.amdhsa_exception_fp_ieee_inexact 0
		.amdhsa_exception_int_div_zero 0
	.end_amdhsa_kernel
	.section	.text._Z30block_run_length_decode_kernelIdcLj256ELj1ELj14EEvPKT_PKT0_PS0_PS3_,"axG",@progbits,_Z30block_run_length_decode_kernelIdcLj256ELj1ELj14EEvPKT_PKT0_PS0_PS3_,comdat
.Lfunc_end10:
	.size	_Z30block_run_length_decode_kernelIdcLj256ELj1ELj14EEvPKT_PKT0_PS0_PS3_, .Lfunc_end10-_Z30block_run_length_decode_kernelIdcLj256ELj1ELj14EEvPKT_PKT0_PS0_PS3_
                                        ; -- End function
	.section	.AMDGPU.csdata,"",@progbits
; Kernel info:
; codeLenInByte = 3972
; NumSgprs: 20
; NumVgprs: 66
; ScratchSize: 0
; MemoryBound: 0
; FloatMode: 240
; IeeeMode: 1
; LDSByteSize: 3072 bytes/workgroup (compile time only)
; SGPRBlocks: 2
; VGPRBlocks: 8
; NumSGPRsForWavesPerEU: 20
; NumVGPRsForWavesPerEU: 66
; Occupancy: 16
; WaveLimiterHint : 0
; COMPUTE_PGM_RSRC2:SCRATCH_EN: 0
; COMPUTE_PGM_RSRC2:USER_SGPR: 15
; COMPUTE_PGM_RSRC2:TRAP_HANDLER: 0
; COMPUTE_PGM_RSRC2:TGID_X_EN: 1
; COMPUTE_PGM_RSRC2:TGID_Y_EN: 0
; COMPUTE_PGM_RSRC2:TGID_Z_EN: 0
; COMPUTE_PGM_RSRC2:TIDIG_COMP_CNT: 0
	.section	.text._Z30block_run_length_decode_kernelIiiLj256ELj1ELj14EEvPKT_PKT0_PS0_PS3_,"axG",@progbits,_Z30block_run_length_decode_kernelIiiLj256ELj1ELj14EEvPKT_PKT0_PS0_PS3_,comdat
	.protected	_Z30block_run_length_decode_kernelIiiLj256ELj1ELj14EEvPKT_PKT0_PS0_PS3_ ; -- Begin function _Z30block_run_length_decode_kernelIiiLj256ELj1ELj14EEvPKT_PKT0_PS0_PS3_
	.globl	_Z30block_run_length_decode_kernelIiiLj256ELj1ELj14EEvPKT_PKT0_PS0_PS3_
	.p2align	8
	.type	_Z30block_run_length_decode_kernelIiiLj256ELj1ELj14EEvPKT_PKT0_PS0_PS3_,@function
_Z30block_run_length_decode_kernelIiiLj256ELj1ELj14EEvPKT_PKT0_PS0_PS3_: ; @_Z30block_run_length_decode_kernelIiiLj256ELj1ELj14EEvPKT_PKT0_PS0_PS3_
; %bb.0:
	s_load_b256 s[0:7], s[0:1], 0x0
	v_mov_b32_e32 v2, 0
	v_lshl_or_b32 v1, s15, 8, v0
	v_or_b32_e32 v7, 31, v0
	s_delay_alu instid0(VALU_DEP_2) | instskip(SKIP_1) | instid1(VALU_DEP_1)
	v_lshlrev_b64 v[2:3], 2, v[1:2]
	s_waitcnt lgkmcnt(0)
	v_add_co_u32 v4, vcc_lo, s2, v2
	s_delay_alu instid0(VALU_DEP_2)
	v_add_co_ci_u32_e32 v5, vcc_lo, s3, v3, vcc_lo
	v_add_co_u32 v2, vcc_lo, s0, v2
	v_add_co_ci_u32_e32 v3, vcc_lo, s1, v3, vcc_lo
	global_load_b32 v4, v[4:5], off
	s_mov_b32 s0, exec_lo
	global_load_b32 v2, v[2:3], off
	v_mbcnt_lo_u32_b32 v3, -1, 0
	s_delay_alu instid0(VALU_DEP_1) | instskip(NEXT) | instid1(VALU_DEP_1)
	v_and_b32_e32 v5, 15, v3
	v_cmp_ne_u32_e32 vcc_lo, 0, v5
	s_waitcnt vmcnt(1)
	v_mov_b32_dpp v6, v4 row_shr:1 row_mask:0xf bank_mask:0xf
	s_delay_alu instid0(VALU_DEP_1) | instskip(SKIP_1) | instid1(VALU_DEP_2)
	v_cndmask_b32_e32 v6, 0, v6, vcc_lo
	v_cmp_lt_u32_e32 vcc_lo, 1, v5
	v_add_nc_u32_e32 v4, v6, v4
	s_delay_alu instid0(VALU_DEP_1) | instskip(NEXT) | instid1(VALU_DEP_1)
	v_mov_b32_dpp v6, v4 row_shr:2 row_mask:0xf bank_mask:0xf
	v_cndmask_b32_e32 v6, 0, v6, vcc_lo
	v_cmp_lt_u32_e32 vcc_lo, 3, v5
	s_delay_alu instid0(VALU_DEP_2) | instskip(NEXT) | instid1(VALU_DEP_1)
	v_add_nc_u32_e32 v4, v4, v6
	v_mov_b32_dpp v6, v4 row_shr:4 row_mask:0xf bank_mask:0xf
	s_delay_alu instid0(VALU_DEP_1) | instskip(SKIP_1) | instid1(VALU_DEP_2)
	v_cndmask_b32_e32 v6, 0, v6, vcc_lo
	v_cmp_lt_u32_e32 vcc_lo, 7, v5
	v_add_nc_u32_e32 v4, v4, v6
	s_delay_alu instid0(VALU_DEP_1) | instskip(NEXT) | instid1(VALU_DEP_1)
	v_mov_b32_dpp v6, v4 row_shr:8 row_mask:0xf bank_mask:0xf
	v_cndmask_b32_e32 v5, 0, v6, vcc_lo
	v_bfe_i32 v6, v3, 4, 1
	s_delay_alu instid0(VALU_DEP_2) | instskip(SKIP_4) | instid1(VALU_DEP_2)
	v_add_nc_u32_e32 v4, v4, v5
	ds_swizzle_b32 v5, v4 offset:swizzle(BROADCAST,32,15)
	s_waitcnt lgkmcnt(0)
	v_and_b32_e32 v5, v6, v5
	v_lshrrev_b32_e32 v6, 5, v0
	v_add_nc_u32_e32 v5, v4, v5
	v_cmpx_eq_u32_e64 v7, v0
	s_cbranch_execz .LBB11_2
; %bb.1:
	s_delay_alu instid0(VALU_DEP_3)
	v_lshlrev_b32_e32 v4, 2, v6
	ds_store_b32 v4, v5
.LBB11_2:
	s_or_b32 exec_lo, exec_lo, s0
	v_lshlrev_b32_e32 v4, 2, v0
	s_mov_b32 s0, exec_lo
	s_waitcnt vmcnt(0) lgkmcnt(0)
	s_barrier
	buffer_gl0_inv
	v_cmpx_gt_u32_e32 8, v0
	s_cbranch_execz .LBB11_4
; %bb.3:
	ds_load_b32 v7, v4
	s_waitcnt lgkmcnt(0)
	v_mov_b32_dpp v9, v7 row_shr:1 row_mask:0xf bank_mask:0xf
	v_and_b32_e32 v8, 7, v3
	s_delay_alu instid0(VALU_DEP_1) | instskip(NEXT) | instid1(VALU_DEP_3)
	v_cmp_ne_u32_e32 vcc_lo, 0, v8
	v_cndmask_b32_e32 v9, 0, v9, vcc_lo
	v_cmp_lt_u32_e32 vcc_lo, 1, v8
	s_delay_alu instid0(VALU_DEP_2) | instskip(NEXT) | instid1(VALU_DEP_1)
	v_add_nc_u32_e32 v7, v9, v7
	v_mov_b32_dpp v9, v7 row_shr:2 row_mask:0xf bank_mask:0xf
	s_delay_alu instid0(VALU_DEP_1) | instskip(SKIP_1) | instid1(VALU_DEP_2)
	v_cndmask_b32_e32 v9, 0, v9, vcc_lo
	v_cmp_lt_u32_e32 vcc_lo, 3, v8
	v_add_nc_u32_e32 v7, v7, v9
	s_delay_alu instid0(VALU_DEP_1) | instskip(NEXT) | instid1(VALU_DEP_1)
	v_mov_b32_dpp v9, v7 row_shr:4 row_mask:0xf bank_mask:0xf
	v_cndmask_b32_e32 v8, 0, v9, vcc_lo
	s_delay_alu instid0(VALU_DEP_1)
	v_add_nc_u32_e32 v7, v7, v8
	ds_store_b32 v4, v7
.LBB11_4:
	s_or_b32 exec_lo, exec_lo, s0
	v_dual_mov_b32 v8, 0 :: v_dual_mov_b32 v7, 0
	s_mov_b32 s0, exec_lo
	s_waitcnt lgkmcnt(0)
	s_barrier
	buffer_gl0_inv
	v_cmpx_lt_u32_e32 31, v0
	s_cbranch_execz .LBB11_6
; %bb.5:
	v_lshl_add_u32 v6, v6, 2, -4
	ds_load_b32 v7, v6
.LBB11_6:
	s_or_b32 exec_lo, exec_lo, s0
	v_add_nc_u32_e32 v6, -1, v3
	ds_load_b32 v8, v8 offset:28
	v_cmp_eq_u32_e64 s0, 0, v3
	s_mov_b32 s15, 0
	s_waitcnt lgkmcnt(0)
	v_cmp_gt_i32_e32 vcc_lo, 0, v6
	s_barrier
	buffer_gl0_inv
	v_dual_cndmask_b32 v6, v6, v3 :: v_dual_add_nc_u32 v5, v7, v5
	s_delay_alu instid0(VALU_DEP_1)
	v_lshlrev_b32_e32 v6, 2, v6
	ds_bpermute_b32 v5, v6, v5
	v_cmp_eq_u32_e32 vcc_lo, 0, v8
	v_readfirstlane_b32 s18, v8
	s_and_b32 vcc_lo, exec_lo, vcc_lo
	s_waitcnt lgkmcnt(0)
	v_cndmask_b32_e64 v3, v5, v7, s0
	ds_store_2addr_stride64_b32 v4, v2, v3 offset1:4
	s_waitcnt lgkmcnt(0)
	s_barrier
	buffer_gl0_inv
	s_cbranch_vccnz .LBB11_91
; %bb.7:
	v_mul_lo_u32 v1, v1, 14
	v_mov_b32_e32 v2, 0
	v_mul_u32_u24_e32 v0, 14, v0
	s_mov_b32 s19, s18
	s_mov_b32 s14, s15
	v_mov_b32_e32 v23, 0x80
	s_delay_alu instid0(VALU_DEP_4)
	v_add_nc_u32_e32 v7, 2, v1
	ds_load_b32 v5, v2 offset:1536
	v_lshlrev_b64 v[2:3], 2, v[1:2]
	v_or_b32_e32 v6, 1, v1
	v_add_nc_u32_e32 v8, 3, v1
	v_add_nc_u32_e32 v9, 4, v1
	;; [unrolled: 1-line block ×4, first 2 shown]
	v_add_co_u32 v12, vcc_lo, s4, v2
	v_add_co_ci_u32_e32 v13, vcc_lo, s5, v3, vcc_lo
	v_add_co_u32 v21, vcc_lo, s6, v2
	v_add_nc_u32_e32 v14, 7, v1
	v_add_nc_u32_e32 v15, 8, v1
	;; [unrolled: 1-line block ×7, first 2 shown]
	v_add_co_ci_u32_e32 v22, vcc_lo, s7, v3, vcc_lo
	s_branch .LBB11_9
.LBB11_8:                               ;   in Loop: Header=BB11_9 Depth=1
	s_or_b32 exec_lo, exec_lo, s0
	s_addk_i32 s14, 0xe00
	s_addk_i32 s19, 0xf200
	s_cmp_lt_u32 s14, s18
	s_cbranch_scc0 .LBB11_91
.LBB11_9:                               ; =>This Inner Loop Header: Depth=1
	v_add_nc_u32_e32 v4, s14, v0
	s_waitcnt lgkmcnt(0)
	s_delay_alu instid0(VALU_DEP_1) | instskip(SKIP_3) | instid1(VALU_DEP_3)
	v_cmp_gt_u32_e32 vcc_lo, v5, v4
	v_cndmask_b32_e64 v3, 0xc0, 64, vcc_lo
	v_cndmask_b32_e64 v2, 0x81, 0, vcc_lo
	v_cndmask_b32_e32 v25, 0x100, v23, vcc_lo
	v_lshlrev_b32_e32 v24, 2, v3
	v_or_b32_e32 v26, 1, v3
	ds_load_b32 v24, v24 offset:1024
	s_waitcnt lgkmcnt(0)
	v_cmp_gt_u32_e32 vcc_lo, v24, v4
	v_dual_cndmask_b32 v2, v26, v2 :: v_dual_cndmask_b32 v3, v25, v3
	s_delay_alu instid0(VALU_DEP_1) | instskip(NEXT) | instid1(VALU_DEP_1)
	v_sub_nc_u32_e32 v24, v3, v2
	v_lshrrev_b16 v25, 15, v24
	s_delay_alu instid0(VALU_DEP_1) | instskip(NEXT) | instid1(VALU_DEP_1)
	v_add_nc_u16 v24, v24, v25
	v_ashrrev_i16 v24, 1, v24
	s_delay_alu instid0(VALU_DEP_1) | instskip(NEXT) | instid1(VALU_DEP_1)
	v_bfe_i32 v24, v24, 0, 16
	v_add_nc_u32_e32 v24, v2, v24
	s_delay_alu instid0(VALU_DEP_1) | instskip(NEXT) | instid1(VALU_DEP_1)
	v_min_i32_e32 v24, 0xff, v24
	v_lshlrev_b32_e32 v25, 2, v24
	v_add_nc_u32_e32 v26, 1, v24
	ds_load_b32 v25, v25 offset:1024
	s_waitcnt lgkmcnt(0)
	v_cmp_gt_u32_e32 vcc_lo, v25, v4
	v_dual_cndmask_b32 v2, v26, v2 :: v_dual_cndmask_b32 v3, v3, v24
	s_delay_alu instid0(VALU_DEP_1) | instskip(NEXT) | instid1(VALU_DEP_1)
	v_sub_nc_u32_e32 v24, v3, v2
	v_lshrrev_b16 v25, 15, v24
	s_delay_alu instid0(VALU_DEP_1) | instskip(NEXT) | instid1(VALU_DEP_1)
	v_add_nc_u16 v24, v24, v25
	v_ashrrev_i16 v24, 1, v24
	s_delay_alu instid0(VALU_DEP_1) | instskip(NEXT) | instid1(VALU_DEP_1)
	v_bfe_i32 v24, v24, 0, 16
	v_add_nc_u32_e32 v24, v2, v24
	s_delay_alu instid0(VALU_DEP_1) | instskip(NEXT) | instid1(VALU_DEP_1)
	v_min_i32_e32 v24, 0xff, v24
	v_add_nc_u32_e32 v26, 1, v24
	v_lshlrev_b32_e32 v25, 2, v24
	ds_load_b32 v25, v25 offset:1024
	s_waitcnt lgkmcnt(0)
	v_cmp_gt_u32_e32 vcc_lo, v25, v4
	v_dual_cndmask_b32 v2, v26, v2 :: v_dual_cndmask_b32 v3, v3, v24
	s_delay_alu instid0(VALU_DEP_1) | instskip(NEXT) | instid1(VALU_DEP_1)
	v_sub_nc_u32_e32 v24, v3, v2
	v_lshrrev_b16 v25, 15, v24
	s_delay_alu instid0(VALU_DEP_1) | instskip(NEXT) | instid1(VALU_DEP_1)
	v_add_nc_u16 v24, v24, v25
	v_ashrrev_i16 v24, 1, v24
	s_delay_alu instid0(VALU_DEP_1) | instskip(NEXT) | instid1(VALU_DEP_1)
	v_bfe_i32 v24, v24, 0, 16
	v_add_nc_u32_e32 v24, v2, v24
	s_delay_alu instid0(VALU_DEP_1) | instskip(NEXT) | instid1(VALU_DEP_1)
	v_min_i32_e32 v24, 0xff, v24
	v_lshlrev_b32_e32 v25, 2, v24
	v_add_nc_u32_e32 v26, 1, v24
	ds_load_b32 v25, v25 offset:1024
	s_waitcnt lgkmcnt(0)
	v_cmp_gt_u32_e32 vcc_lo, v25, v4
	v_dual_cndmask_b32 v2, v26, v2 :: v_dual_cndmask_b32 v3, v3, v24
	s_delay_alu instid0(VALU_DEP_1) | instskip(NEXT) | instid1(VALU_DEP_1)
	v_sub_nc_u32_e32 v24, v3, v2
	v_lshrrev_b16 v25, 15, v24
	s_delay_alu instid0(VALU_DEP_1) | instskip(NEXT) | instid1(VALU_DEP_1)
	v_add_nc_u16 v24, v24, v25
	v_ashrrev_i16 v24, 1, v24
	s_delay_alu instid0(VALU_DEP_1) | instskip(NEXT) | instid1(VALU_DEP_1)
	v_bfe_i32 v24, v24, 0, 16
	v_add_nc_u32_e32 v24, v2, v24
	s_delay_alu instid0(VALU_DEP_1) | instskip(NEXT) | instid1(VALU_DEP_1)
	v_min_i32_e32 v24, 0xff, v24
	v_lshlrev_b32_e32 v25, 2, v24
	v_add_nc_u32_e32 v26, 1, v24
	;; [unrolled: 17-line block ×5, first 2 shown]
	ds_load_b32 v24, v24 offset:1024
	s_waitcnt lgkmcnt(0)
	v_cmp_gt_u32_e32 vcc_lo, v24, v4
	v_cndmask_b32_e32 v35, v3, v2, vcc_lo
	s_delay_alu instid0(VALU_DEP_1) | instskip(NEXT) | instid1(VALU_DEP_1)
	v_lshlrev_b32_e32 v26, 2, v35
	v_add_nc_u32_e32 v2, 0x3fc, v26
	v_add_nc_u32_e32 v24, -4, v26
	ds_load_2addr_b32 v[2:3], v2 offset1:1
	ds_load_b32 v32, v24
	v_add_nc_u32_e32 v24, 1, v4
	s_waitcnt lgkmcnt(1)
	v_sub_nc_u32_e32 v25, v4, v2
	s_delay_alu instid0(VALU_DEP_2) | instskip(SKIP_1) | instid1(VALU_DEP_2)
	v_cmp_eq_u32_e32 vcc_lo, v24, v3
	s_waitcnt lgkmcnt(0)
	v_dual_mov_b32 v33, v32 :: v_dual_mov_b32 v24, v25
	s_and_saveexec_b32 s0, vcc_lo
	s_cbranch_execz .LBB11_11
; %bb.10:                               ;   in Loop: Header=BB11_9 Depth=1
	ds_load_b32 v2, v26 offset:1028
	ds_load_b32 v33, v26
	v_add_nc_u32_e32 v35, 1, v35
	v_sub_nc_u32_e32 v24, v4, v3
	s_waitcnt lgkmcnt(1)
	v_mov_b32_e32 v3, v2
.LBB11_11:                              ;   in Loop: Header=BB11_9 Depth=1
	s_or_b32 exec_lo, exec_lo, s0
	v_add_nc_u32_e32 v2, 2, v4
	v_mov_b32_e32 v26, v24
	s_waitcnt lgkmcnt(0)
	v_mov_b32_e32 v36, v33
	s_mov_b32 s0, exec_lo
	v_cmpx_eq_u32_e64 v2, v3
	s_cbranch_execz .LBB11_13
; %bb.12:                               ;   in Loop: Header=BB11_9 Depth=1
	v_lshlrev_b32_e32 v2, 2, v35
	v_add_nc_u32_e32 v35, 1, v35
	v_sub_nc_u32_e32 v26, v4, v3
	ds_load_b32 v27, v2 offset:1028
	ds_load_b32 v36, v2
	s_waitcnt lgkmcnt(1)
	v_mov_b32_e32 v3, v27
.LBB11_13:                              ;   in Loop: Header=BB11_9 Depth=1
	s_or_b32 exec_lo, exec_lo, s0
	v_dual_mov_b32 v27, v26 :: v_dual_add_nc_u32 v2, 3, v4
	s_waitcnt lgkmcnt(0)
	v_mov_b32_e32 v38, v36
	s_mov_b32 s0, exec_lo
	s_delay_alu instid0(VALU_DEP_2)
	v_cmpx_eq_u32_e64 v2, v3
	s_cbranch_execz .LBB11_15
; %bb.14:                               ;   in Loop: Header=BB11_9 Depth=1
	v_lshlrev_b32_e32 v27, 2, v35
	v_add_nc_u32_e32 v35, 1, v35
	s_delay_alu instid0(VALU_DEP_2)
	v_add_nc_u32_e32 v2, 0x400, v27
	ds_load_2addr_b32 v[2:3], v2 offset1:1
	ds_load_b32 v38, v27
	s_waitcnt lgkmcnt(1)
	v_sub_nc_u32_e32 v27, v4, v2
.LBB11_15:                              ;   in Loop: Header=BB11_9 Depth=1
	s_or_b32 exec_lo, exec_lo, s0
	v_add_nc_u32_e32 v2, 4, v4
	s_delay_alu instid0(VALU_DEP_2)
	v_mov_b32_e32 v28, v27
	s_waitcnt lgkmcnt(0)
	v_mov_b32_e32 v40, v38
	s_mov_b32 s0, exec_lo
	v_cmpx_eq_u32_e64 v2, v3
	s_cbranch_execz .LBB11_17
; %bb.16:                               ;   in Loop: Header=BB11_9 Depth=1
	v_lshlrev_b32_e32 v28, 2, v35
	v_add_nc_u32_e32 v35, 1, v35
	s_delay_alu instid0(VALU_DEP_2)
	v_add_nc_u32_e32 v2, 0x400, v28
	ds_load_2addr_b32 v[2:3], v2 offset1:1
	ds_load_b32 v40, v28
	s_waitcnt lgkmcnt(1)
	v_sub_nc_u32_e32 v28, v4, v2
.LBB11_17:                              ;   in Loop: Header=BB11_9 Depth=1
	s_or_b32 exec_lo, exec_lo, s0
	s_delay_alu instid0(VALU_DEP_1) | instskip(SKIP_3) | instid1(VALU_DEP_2)
	v_dual_mov_b32 v29, v28 :: v_dual_add_nc_u32 v2, 5, v4
	s_waitcnt lgkmcnt(0)
	v_mov_b32_e32 v42, v40
	s_mov_b32 s0, exec_lo
	v_cmpx_eq_u32_e64 v2, v3
	s_cbranch_execz .LBB11_19
; %bb.18:                               ;   in Loop: Header=BB11_9 Depth=1
	v_lshlrev_b32_e32 v29, 2, v35
	v_add_nc_u32_e32 v35, 1, v35
	s_delay_alu instid0(VALU_DEP_2)
	v_add_nc_u32_e32 v2, 0x400, v29
	ds_load_2addr_b32 v[2:3], v2 offset1:1
	ds_load_b32 v42, v29
	s_waitcnt lgkmcnt(1)
	v_sub_nc_u32_e32 v29, v4, v2
.LBB11_19:                              ;   in Loop: Header=BB11_9 Depth=1
	s_or_b32 exec_lo, exec_lo, s0
	v_add_nc_u32_e32 v2, 6, v4
	s_delay_alu instid0(VALU_DEP_2)
	v_mov_b32_e32 v30, v29
	s_waitcnt lgkmcnt(0)
	v_mov_b32_e32 v44, v42
	s_mov_b32 s0, exec_lo
	v_cmpx_eq_u32_e64 v2, v3
	s_cbranch_execz .LBB11_21
; %bb.20:                               ;   in Loop: Header=BB11_9 Depth=1
	v_lshlrev_b32_e32 v30, 2, v35
	v_add_nc_u32_e32 v35, 1, v35
	s_delay_alu instid0(VALU_DEP_2)
	v_add_nc_u32_e32 v2, 0x400, v30
	ds_load_2addr_b32 v[2:3], v2 offset1:1
	ds_load_b32 v44, v30
	s_waitcnt lgkmcnt(1)
	v_sub_nc_u32_e32 v30, v4, v2
.LBB11_21:                              ;   in Loop: Header=BB11_9 Depth=1
	s_or_b32 exec_lo, exec_lo, s0
	s_delay_alu instid0(VALU_DEP_1) | instskip(SKIP_3) | instid1(VALU_DEP_2)
	v_dual_mov_b32 v31, v30 :: v_dual_add_nc_u32 v2, 7, v4
	s_waitcnt lgkmcnt(0)
	v_mov_b32_e32 v46, v44
	s_mov_b32 s0, exec_lo
	v_cmpx_eq_u32_e64 v2, v3
	s_cbranch_execz .LBB11_23
; %bb.22:                               ;   in Loop: Header=BB11_9 Depth=1
	v_lshlrev_b32_e32 v31, 2, v35
	v_add_nc_u32_e32 v35, 1, v35
	s_delay_alu instid0(VALU_DEP_2)
	v_add_nc_u32_e32 v2, 0x400, v31
	ds_load_2addr_b32 v[2:3], v2 offset1:1
	ds_load_b32 v46, v31
	s_waitcnt lgkmcnt(1)
	v_sub_nc_u32_e32 v31, v4, v2
.LBB11_23:                              ;   in Loop: Header=BB11_9 Depth=1
	s_or_b32 exec_lo, exec_lo, s0
	s_waitcnt lgkmcnt(0)
	v_dual_mov_b32 v47, v46 :: v_dual_add_nc_u32 v2, 8, v4
	s_delay_alu instid0(VALU_DEP_2) | instskip(SKIP_1) | instid1(VALU_DEP_2)
	v_mov_b32_e32 v34, v31
	s_mov_b32 s0, exec_lo
	v_cmpx_eq_u32_e64 v2, v3
	s_cbranch_execz .LBB11_25
; %bb.24:                               ;   in Loop: Header=BB11_9 Depth=1
	v_lshlrev_b32_e32 v34, 2, v35
	v_add_nc_u32_e32 v35, 1, v35
	s_delay_alu instid0(VALU_DEP_2)
	v_add_nc_u32_e32 v2, 0x400, v34
	ds_load_2addr_b32 v[2:3], v2 offset1:1
	ds_load_b32 v47, v34
	s_waitcnt lgkmcnt(1)
	v_sub_nc_u32_e32 v34, v4, v2
.LBB11_25:                              ;   in Loop: Header=BB11_9 Depth=1
	s_or_b32 exec_lo, exec_lo, s0
	s_delay_alu instid0(VALU_DEP_1) | instskip(SKIP_3) | instid1(VALU_DEP_2)
	v_dual_mov_b32 v37, v34 :: v_dual_add_nc_u32 v2, 9, v4
	s_waitcnt lgkmcnt(0)
	v_mov_b32_e32 v48, v47
	s_mov_b32 s0, exec_lo
	v_cmpx_eq_u32_e64 v2, v3
	s_cbranch_execz .LBB11_27
; %bb.26:                               ;   in Loop: Header=BB11_9 Depth=1
	v_lshlrev_b32_e32 v37, 2, v35
	v_add_nc_u32_e32 v35, 1, v35
	s_delay_alu instid0(VALU_DEP_2)
	v_add_nc_u32_e32 v2, 0x400, v37
	ds_load_2addr_b32 v[2:3], v2 offset1:1
	ds_load_b32 v48, v37
	s_waitcnt lgkmcnt(1)
	v_sub_nc_u32_e32 v37, v4, v2
.LBB11_27:                              ;   in Loop: Header=BB11_9 Depth=1
	s_or_b32 exec_lo, exec_lo, s0
	s_delay_alu instid0(VALU_DEP_1) | instskip(SKIP_3) | instid1(VALU_DEP_2)
	v_dual_mov_b32 v39, v37 :: v_dual_add_nc_u32 v2, 10, v4
	s_waitcnt lgkmcnt(0)
	;; [unrolled: 18-line block ×4, first 2 shown]
	v_mov_b32_e32 v51, v50
	s_mov_b32 s0, exec_lo
	v_cmpx_eq_u32_e64 v2, v3
	s_cbranch_execz .LBB11_33
; %bb.32:                               ;   in Loop: Header=BB11_9 Depth=1
	v_lshlrev_b32_e32 v43, 2, v35
	v_add_nc_u32_e32 v35, 1, v35
	s_delay_alu instid0(VALU_DEP_2)
	v_add_nc_u32_e32 v2, 0x400, v43
	ds_load_2addr_b32 v[2:3], v2 offset1:1
	ds_load_b32 v51, v43
	s_waitcnt lgkmcnt(1)
	v_sub_nc_u32_e32 v43, v4, v2
.LBB11_33:                              ;   in Loop: Header=BB11_9 Depth=1
	s_or_b32 exec_lo, exec_lo, s0
	s_delay_alu instid0(VALU_DEP_1) | instskip(NEXT) | instid1(VALU_DEP_1)
	v_dual_mov_b32 v45, v43 :: v_dual_add_nc_u32 v2, 13, v4
	v_cmp_eq_u32_e32 vcc_lo, v2, v3
	s_waitcnt lgkmcnt(0)
	v_mov_b32_e32 v2, v51
	s_and_saveexec_b32 s0, vcc_lo
	s_cbranch_execz .LBB11_35
; %bb.34:                               ;   in Loop: Header=BB11_9 Depth=1
	v_lshlrev_b32_e32 v2, 2, v35
	ds_load_2addr_stride64_b32 v[2:3], v2 offset1:4
	s_waitcnt lgkmcnt(0)
	v_sub_nc_u32_e32 v45, v4, v3
.LBB11_35:                              ;   in Loop: Header=BB11_9 Depth=1
	s_or_b32 exec_lo, exec_lo, s0
	s_lshl_b64 s[16:17], s[14:15], 2
	s_min_u32 s12, s19, 0xe00
	v_add_co_u32 v3, vcc_lo, v12, s16
	v_add_co_ci_u32_e32 v4, vcc_lo, s17, v13, vcc_lo
	v_cmp_gt_u32_e32 vcc_lo, s12, v1
	s_and_saveexec_b32 s0, vcc_lo
	s_cbranch_execnz .LBB11_64
; %bb.36:                               ;   in Loop: Header=BB11_9 Depth=1
	s_or_b32 exec_lo, exec_lo, s0
	v_cmp_gt_u32_e64 s0, s12, v6
	s_delay_alu instid0(VALU_DEP_1)
	s_and_saveexec_b32 s1, s0
	s_cbranch_execnz .LBB11_65
.LBB11_37:                              ;   in Loop: Header=BB11_9 Depth=1
	s_or_b32 exec_lo, exec_lo, s1
	v_cmp_gt_u32_e64 s1, s12, v7
	s_delay_alu instid0(VALU_DEP_1)
	s_and_saveexec_b32 s2, s1
	s_cbranch_execnz .LBB11_66
.LBB11_38:                              ;   in Loop: Header=BB11_9 Depth=1
	s_or_b32 exec_lo, exec_lo, s2
	v_cmp_gt_u32_e64 s2, s12, v8
	s_delay_alu instid0(VALU_DEP_1)
	s_and_saveexec_b32 s3, s2
	s_cbranch_execnz .LBB11_67
.LBB11_39:                              ;   in Loop: Header=BB11_9 Depth=1
	s_or_b32 exec_lo, exec_lo, s3
	v_cmp_gt_u32_e64 s3, s12, v9
	s_delay_alu instid0(VALU_DEP_1)
	s_and_saveexec_b32 s4, s3
	s_cbranch_execnz .LBB11_68
.LBB11_40:                              ;   in Loop: Header=BB11_9 Depth=1
	s_or_b32 exec_lo, exec_lo, s4
	v_cmp_gt_u32_e64 s4, s12, v10
	s_delay_alu instid0(VALU_DEP_1)
	s_and_saveexec_b32 s5, s4
	s_cbranch_execnz .LBB11_69
.LBB11_41:                              ;   in Loop: Header=BB11_9 Depth=1
	s_or_b32 exec_lo, exec_lo, s5
	v_cmp_gt_u32_e64 s5, s12, v11
	s_delay_alu instid0(VALU_DEP_1)
	s_and_saveexec_b32 s6, s5
	s_cbranch_execnz .LBB11_70
.LBB11_42:                              ;   in Loop: Header=BB11_9 Depth=1
	s_or_b32 exec_lo, exec_lo, s6
	v_cmp_gt_u32_e64 s6, s12, v14
	s_delay_alu instid0(VALU_DEP_1)
	s_and_saveexec_b32 s7, s6
	s_cbranch_execnz .LBB11_71
.LBB11_43:                              ;   in Loop: Header=BB11_9 Depth=1
	s_or_b32 exec_lo, exec_lo, s7
	v_cmp_gt_u32_e64 s7, s12, v15
	s_delay_alu instid0(VALU_DEP_1)
	s_and_saveexec_b32 s8, s7
	s_cbranch_execnz .LBB11_72
.LBB11_44:                              ;   in Loop: Header=BB11_9 Depth=1
	s_or_b32 exec_lo, exec_lo, s8
	v_cmp_gt_u32_e64 s8, s12, v16
	s_delay_alu instid0(VALU_DEP_1)
	s_and_saveexec_b32 s9, s8
	s_cbranch_execnz .LBB11_73
.LBB11_45:                              ;   in Loop: Header=BB11_9 Depth=1
	s_or_b32 exec_lo, exec_lo, s9
	v_cmp_gt_u32_e64 s9, s12, v17
	s_delay_alu instid0(VALU_DEP_1)
	s_and_saveexec_b32 s10, s9
	s_cbranch_execnz .LBB11_74
.LBB11_46:                              ;   in Loop: Header=BB11_9 Depth=1
	s_or_b32 exec_lo, exec_lo, s10
	v_cmp_gt_u32_e64 s10, s12, v18
	s_delay_alu instid0(VALU_DEP_1)
	s_and_saveexec_b32 s11, s10
	s_cbranch_execnz .LBB11_75
.LBB11_47:                              ;   in Loop: Header=BB11_9 Depth=1
	s_or_b32 exec_lo, exec_lo, s11
	v_cmp_gt_u32_e64 s11, s12, v19
	s_delay_alu instid0(VALU_DEP_1)
	s_and_saveexec_b32 s13, s11
	s_cbranch_execnz .LBB11_76
.LBB11_48:                              ;   in Loop: Header=BB11_9 Depth=1
	s_or_b32 exec_lo, exec_lo, s13
	v_cmp_gt_u32_e64 s12, s12, v20
	s_delay_alu instid0(VALU_DEP_1)
	s_and_saveexec_b32 s13, s12
	s_cbranch_execz .LBB11_50
.LBB11_49:                              ;   in Loop: Header=BB11_9 Depth=1
	global_store_b32 v[3:4], v2, off offset:52
.LBB11_50:                              ;   in Loop: Header=BB11_9 Depth=1
	s_or_b32 exec_lo, exec_lo, s13
	v_add_co_u32 v2, s13, v21, s16
	s_delay_alu instid0(VALU_DEP_1)
	v_add_co_ci_u32_e64 v3, s13, s17, v22, s13
	s_and_saveexec_b32 s13, vcc_lo
	s_cbranch_execnz .LBB11_77
; %bb.51:                               ;   in Loop: Header=BB11_9 Depth=1
	s_or_b32 exec_lo, exec_lo, s13
	s_and_saveexec_b32 s13, s0
	s_cbranch_execnz .LBB11_78
.LBB11_52:                              ;   in Loop: Header=BB11_9 Depth=1
	s_or_b32 exec_lo, exec_lo, s13
	s_and_saveexec_b32 s0, s1
	s_cbranch_execnz .LBB11_79
.LBB11_53:                              ;   in Loop: Header=BB11_9 Depth=1
	s_or_b32 exec_lo, exec_lo, s0
	s_and_saveexec_b32 s0, s2
	s_cbranch_execnz .LBB11_80
.LBB11_54:                              ;   in Loop: Header=BB11_9 Depth=1
	s_or_b32 exec_lo, exec_lo, s0
	s_and_saveexec_b32 s0, s3
	s_cbranch_execnz .LBB11_81
.LBB11_55:                              ;   in Loop: Header=BB11_9 Depth=1
	s_or_b32 exec_lo, exec_lo, s0
	s_and_saveexec_b32 s0, s4
	s_cbranch_execnz .LBB11_82
.LBB11_56:                              ;   in Loop: Header=BB11_9 Depth=1
	s_or_b32 exec_lo, exec_lo, s0
	s_and_saveexec_b32 s0, s5
	s_cbranch_execnz .LBB11_83
.LBB11_57:                              ;   in Loop: Header=BB11_9 Depth=1
	s_or_b32 exec_lo, exec_lo, s0
	s_and_saveexec_b32 s0, s6
	s_cbranch_execnz .LBB11_84
.LBB11_58:                              ;   in Loop: Header=BB11_9 Depth=1
	s_or_b32 exec_lo, exec_lo, s0
	s_and_saveexec_b32 s0, s7
	s_cbranch_execnz .LBB11_85
.LBB11_59:                              ;   in Loop: Header=BB11_9 Depth=1
	s_or_b32 exec_lo, exec_lo, s0
	s_and_saveexec_b32 s0, s8
	s_cbranch_execnz .LBB11_86
.LBB11_60:                              ;   in Loop: Header=BB11_9 Depth=1
	s_or_b32 exec_lo, exec_lo, s0
	s_and_saveexec_b32 s0, s9
	s_cbranch_execnz .LBB11_87
.LBB11_61:                              ;   in Loop: Header=BB11_9 Depth=1
	s_or_b32 exec_lo, exec_lo, s0
	s_and_saveexec_b32 s0, s10
	s_cbranch_execnz .LBB11_88
.LBB11_62:                              ;   in Loop: Header=BB11_9 Depth=1
	s_or_b32 exec_lo, exec_lo, s0
	s_and_saveexec_b32 s0, s11
	s_cbranch_execnz .LBB11_89
.LBB11_63:                              ;   in Loop: Header=BB11_9 Depth=1
	s_or_b32 exec_lo, exec_lo, s0
	s_and_saveexec_b32 s0, s12
	s_cbranch_execz .LBB11_8
	s_branch .LBB11_90
.LBB11_64:                              ;   in Loop: Header=BB11_9 Depth=1
	global_store_b32 v[3:4], v32, off
	s_or_b32 exec_lo, exec_lo, s0
	v_cmp_gt_u32_e64 s0, s12, v6
	s_delay_alu instid0(VALU_DEP_1)
	s_and_saveexec_b32 s1, s0
	s_cbranch_execz .LBB11_37
.LBB11_65:                              ;   in Loop: Header=BB11_9 Depth=1
	global_store_b32 v[3:4], v33, off offset:4
	s_or_b32 exec_lo, exec_lo, s1
	v_cmp_gt_u32_e64 s1, s12, v7
	s_delay_alu instid0(VALU_DEP_1)
	s_and_saveexec_b32 s2, s1
	s_cbranch_execz .LBB11_38
.LBB11_66:                              ;   in Loop: Header=BB11_9 Depth=1
	global_store_b32 v[3:4], v36, off offset:8
	s_or_b32 exec_lo, exec_lo, s2
	v_cmp_gt_u32_e64 s2, s12, v8
	s_delay_alu instid0(VALU_DEP_1)
	s_and_saveexec_b32 s3, s2
	s_cbranch_execz .LBB11_39
.LBB11_67:                              ;   in Loop: Header=BB11_9 Depth=1
	global_store_b32 v[3:4], v38, off offset:12
	s_or_b32 exec_lo, exec_lo, s3
	v_cmp_gt_u32_e64 s3, s12, v9
	s_delay_alu instid0(VALU_DEP_1)
	s_and_saveexec_b32 s4, s3
	s_cbranch_execz .LBB11_40
.LBB11_68:                              ;   in Loop: Header=BB11_9 Depth=1
	global_store_b32 v[3:4], v40, off offset:16
	s_or_b32 exec_lo, exec_lo, s4
	v_cmp_gt_u32_e64 s4, s12, v10
	s_delay_alu instid0(VALU_DEP_1)
	s_and_saveexec_b32 s5, s4
	s_cbranch_execz .LBB11_41
.LBB11_69:                              ;   in Loop: Header=BB11_9 Depth=1
	global_store_b32 v[3:4], v42, off offset:20
	s_or_b32 exec_lo, exec_lo, s5
	v_cmp_gt_u32_e64 s5, s12, v11
	s_delay_alu instid0(VALU_DEP_1)
	s_and_saveexec_b32 s6, s5
	s_cbranch_execz .LBB11_42
.LBB11_70:                              ;   in Loop: Header=BB11_9 Depth=1
	global_store_b32 v[3:4], v44, off offset:24
	s_or_b32 exec_lo, exec_lo, s6
	v_cmp_gt_u32_e64 s6, s12, v14
	s_delay_alu instid0(VALU_DEP_1)
	s_and_saveexec_b32 s7, s6
	s_cbranch_execz .LBB11_43
.LBB11_71:                              ;   in Loop: Header=BB11_9 Depth=1
	global_store_b32 v[3:4], v46, off offset:28
	s_or_b32 exec_lo, exec_lo, s7
	v_cmp_gt_u32_e64 s7, s12, v15
	s_delay_alu instid0(VALU_DEP_1)
	s_and_saveexec_b32 s8, s7
	s_cbranch_execz .LBB11_44
.LBB11_72:                              ;   in Loop: Header=BB11_9 Depth=1
	global_store_b32 v[3:4], v47, off offset:32
	s_or_b32 exec_lo, exec_lo, s8
	v_cmp_gt_u32_e64 s8, s12, v16
	s_delay_alu instid0(VALU_DEP_1)
	s_and_saveexec_b32 s9, s8
	s_cbranch_execz .LBB11_45
.LBB11_73:                              ;   in Loop: Header=BB11_9 Depth=1
	global_store_b32 v[3:4], v48, off offset:36
	s_or_b32 exec_lo, exec_lo, s9
	v_cmp_gt_u32_e64 s9, s12, v17
	s_delay_alu instid0(VALU_DEP_1)
	s_and_saveexec_b32 s10, s9
	s_cbranch_execz .LBB11_46
.LBB11_74:                              ;   in Loop: Header=BB11_9 Depth=1
	global_store_b32 v[3:4], v49, off offset:40
	s_or_b32 exec_lo, exec_lo, s10
	v_cmp_gt_u32_e64 s10, s12, v18
	s_delay_alu instid0(VALU_DEP_1)
	s_and_saveexec_b32 s11, s10
	s_cbranch_execz .LBB11_47
.LBB11_75:                              ;   in Loop: Header=BB11_9 Depth=1
	global_store_b32 v[3:4], v50, off offset:44
	s_or_b32 exec_lo, exec_lo, s11
	v_cmp_gt_u32_e64 s11, s12, v19
	s_delay_alu instid0(VALU_DEP_1)
	s_and_saveexec_b32 s13, s11
	s_cbranch_execz .LBB11_48
.LBB11_76:                              ;   in Loop: Header=BB11_9 Depth=1
	global_store_b32 v[3:4], v51, off offset:48
	s_or_b32 exec_lo, exec_lo, s13
	v_cmp_gt_u32_e64 s12, s12, v20
	s_delay_alu instid0(VALU_DEP_1)
	s_and_saveexec_b32 s13, s12
	s_cbranch_execnz .LBB11_49
	s_branch .LBB11_50
.LBB11_77:                              ;   in Loop: Header=BB11_9 Depth=1
	global_store_b32 v[2:3], v25, off
	s_or_b32 exec_lo, exec_lo, s13
	s_and_saveexec_b32 s13, s0
	s_cbranch_execz .LBB11_52
.LBB11_78:                              ;   in Loop: Header=BB11_9 Depth=1
	v_add_nc_u32_e32 v4, 1, v24
	global_store_b32 v[2:3], v4, off offset:4
	s_or_b32 exec_lo, exec_lo, s13
	s_and_saveexec_b32 s0, s1
	s_cbranch_execz .LBB11_53
.LBB11_79:                              ;   in Loop: Header=BB11_9 Depth=1
	v_add_nc_u32_e32 v4, 2, v26
	global_store_b32 v[2:3], v4, off offset:8
	s_or_b32 exec_lo, exec_lo, s0
	s_and_saveexec_b32 s0, s2
	s_cbranch_execz .LBB11_54
.LBB11_80:                              ;   in Loop: Header=BB11_9 Depth=1
	v_add_nc_u32_e32 v4, 3, v27
	global_store_b32 v[2:3], v4, off offset:12
	s_or_b32 exec_lo, exec_lo, s0
	s_and_saveexec_b32 s0, s3
	s_cbranch_execz .LBB11_55
.LBB11_81:                              ;   in Loop: Header=BB11_9 Depth=1
	v_add_nc_u32_e32 v4, 4, v28
	global_store_b32 v[2:3], v4, off offset:16
	s_or_b32 exec_lo, exec_lo, s0
	s_and_saveexec_b32 s0, s4
	s_cbranch_execz .LBB11_56
.LBB11_82:                              ;   in Loop: Header=BB11_9 Depth=1
	v_add_nc_u32_e32 v4, 5, v29
	global_store_b32 v[2:3], v4, off offset:20
	s_or_b32 exec_lo, exec_lo, s0
	s_and_saveexec_b32 s0, s5
	s_cbranch_execz .LBB11_57
.LBB11_83:                              ;   in Loop: Header=BB11_9 Depth=1
	v_add_nc_u32_e32 v4, 6, v30
	global_store_b32 v[2:3], v4, off offset:24
	s_or_b32 exec_lo, exec_lo, s0
	s_and_saveexec_b32 s0, s6
	s_cbranch_execz .LBB11_58
.LBB11_84:                              ;   in Loop: Header=BB11_9 Depth=1
	v_add_nc_u32_e32 v4, 7, v31
	global_store_b32 v[2:3], v4, off offset:28
	s_or_b32 exec_lo, exec_lo, s0
	s_and_saveexec_b32 s0, s7
	s_cbranch_execz .LBB11_59
.LBB11_85:                              ;   in Loop: Header=BB11_9 Depth=1
	v_add_nc_u32_e32 v4, 8, v34
	global_store_b32 v[2:3], v4, off offset:32
	s_or_b32 exec_lo, exec_lo, s0
	s_and_saveexec_b32 s0, s8
	s_cbranch_execz .LBB11_60
.LBB11_86:                              ;   in Loop: Header=BB11_9 Depth=1
	v_add_nc_u32_e32 v4, 9, v37
	global_store_b32 v[2:3], v4, off offset:36
	s_or_b32 exec_lo, exec_lo, s0
	s_and_saveexec_b32 s0, s9
	s_cbranch_execz .LBB11_61
.LBB11_87:                              ;   in Loop: Header=BB11_9 Depth=1
	v_add_nc_u32_e32 v4, 10, v39
	global_store_b32 v[2:3], v4, off offset:40
	s_or_b32 exec_lo, exec_lo, s0
	s_and_saveexec_b32 s0, s10
	s_cbranch_execz .LBB11_62
.LBB11_88:                              ;   in Loop: Header=BB11_9 Depth=1
	v_add_nc_u32_e32 v4, 11, v41
	global_store_b32 v[2:3], v4, off offset:44
	s_or_b32 exec_lo, exec_lo, s0
	s_and_saveexec_b32 s0, s11
	s_cbranch_execz .LBB11_63
.LBB11_89:                              ;   in Loop: Header=BB11_9 Depth=1
	v_add_nc_u32_e32 v4, 12, v43
	global_store_b32 v[2:3], v4, off offset:48
	s_or_b32 exec_lo, exec_lo, s0
	s_and_saveexec_b32 s0, s12
	s_cbranch_execz .LBB11_8
.LBB11_90:                              ;   in Loop: Header=BB11_9 Depth=1
	v_add_nc_u32_e32 v4, 13, v45
	global_store_b32 v[2:3], v4, off offset:52
	s_branch .LBB11_8
.LBB11_91:
	s_nop 0
	s_sendmsg sendmsg(MSG_DEALLOC_VGPRS)
	s_endpgm
	.section	.rodata,"a",@progbits
	.p2align	6, 0x0
	.amdhsa_kernel _Z30block_run_length_decode_kernelIiiLj256ELj1ELj14EEvPKT_PKT0_PS0_PS3_
		.amdhsa_group_segment_fixed_size 2048
		.amdhsa_private_segment_fixed_size 0
		.amdhsa_kernarg_size 32
		.amdhsa_user_sgpr_count 15
		.amdhsa_user_sgpr_dispatch_ptr 0
		.amdhsa_user_sgpr_queue_ptr 0
		.amdhsa_user_sgpr_kernarg_segment_ptr 1
		.amdhsa_user_sgpr_dispatch_id 0
		.amdhsa_user_sgpr_private_segment_size 0
		.amdhsa_wavefront_size32 1
		.amdhsa_uses_dynamic_stack 0
		.amdhsa_enable_private_segment 0
		.amdhsa_system_sgpr_workgroup_id_x 1
		.amdhsa_system_sgpr_workgroup_id_y 0
		.amdhsa_system_sgpr_workgroup_id_z 0
		.amdhsa_system_sgpr_workgroup_info 0
		.amdhsa_system_vgpr_workitem_id 0
		.amdhsa_next_free_vgpr 52
		.amdhsa_next_free_sgpr 20
		.amdhsa_reserve_vcc 1
		.amdhsa_float_round_mode_32 0
		.amdhsa_float_round_mode_16_64 0
		.amdhsa_float_denorm_mode_32 3
		.amdhsa_float_denorm_mode_16_64 3
		.amdhsa_dx10_clamp 1
		.amdhsa_ieee_mode 1
		.amdhsa_fp16_overflow 0
		.amdhsa_workgroup_processor_mode 1
		.amdhsa_memory_ordered 1
		.amdhsa_forward_progress 0
		.amdhsa_shared_vgpr_count 0
		.amdhsa_exception_fp_ieee_invalid_op 0
		.amdhsa_exception_fp_denorm_src 0
		.amdhsa_exception_fp_ieee_div_zero 0
		.amdhsa_exception_fp_ieee_overflow 0
		.amdhsa_exception_fp_ieee_underflow 0
		.amdhsa_exception_fp_ieee_inexact 0
		.amdhsa_exception_int_div_zero 0
	.end_amdhsa_kernel
	.section	.text._Z30block_run_length_decode_kernelIiiLj256ELj1ELj14EEvPKT_PKT0_PS0_PS3_,"axG",@progbits,_Z30block_run_length_decode_kernelIiiLj256ELj1ELj14EEvPKT_PKT0_PS0_PS3_,comdat
.Lfunc_end11:
	.size	_Z30block_run_length_decode_kernelIiiLj256ELj1ELj14EEvPKT_PKT0_PS0_PS3_, .Lfunc_end11-_Z30block_run_length_decode_kernelIiiLj256ELj1ELj14EEvPKT_PKT0_PS0_PS3_
                                        ; -- End function
	.section	.AMDGPU.csdata,"",@progbits
; Kernel info:
; codeLenInByte = 3876
; NumSgprs: 22
; NumVgprs: 52
; ScratchSize: 0
; MemoryBound: 0
; FloatMode: 240
; IeeeMode: 1
; LDSByteSize: 2048 bytes/workgroup (compile time only)
; SGPRBlocks: 2
; VGPRBlocks: 6
; NumSGPRsForWavesPerEU: 22
; NumVGPRsForWavesPerEU: 52
; Occupancy: 16
; WaveLimiterHint : 0
; COMPUTE_PGM_RSRC2:SCRATCH_EN: 0
; COMPUTE_PGM_RSRC2:USER_SGPR: 15
; COMPUTE_PGM_RSRC2:TRAP_HANDLER: 0
; COMPUTE_PGM_RSRC2:TGID_X_EN: 1
; COMPUTE_PGM_RSRC2:TGID_Y_EN: 0
; COMPUTE_PGM_RSRC2:TGID_Z_EN: 0
; COMPUTE_PGM_RSRC2:TIDIG_COMP_CNT: 0
	.section	.text._Z30block_run_length_decode_kernelI12hip_bfloat16iLj256ELj8ELj8EEvPKT_PKT0_PS1_PS4_,"axG",@progbits,_Z30block_run_length_decode_kernelI12hip_bfloat16iLj256ELj8ELj8EEvPKT_PKT0_PS1_PS4_,comdat
	.protected	_Z30block_run_length_decode_kernelI12hip_bfloat16iLj256ELj8ELj8EEvPKT_PKT0_PS1_PS4_ ; -- Begin function _Z30block_run_length_decode_kernelI12hip_bfloat16iLj256ELj8ELj8EEvPKT_PKT0_PS1_PS4_
	.globl	_Z30block_run_length_decode_kernelI12hip_bfloat16iLj256ELj8ELj8EEvPKT_PKT0_PS1_PS4_
	.p2align	8
	.type	_Z30block_run_length_decode_kernelI12hip_bfloat16iLj256ELj8ELj8EEvPKT_PKT0_PS1_PS4_,@function
_Z30block_run_length_decode_kernelI12hip_bfloat16iLj256ELj8ELj8EEvPKT_PKT0_PS1_PS4_: ; @_Z30block_run_length_decode_kernelI12hip_bfloat16iLj256ELj8ELj8EEvPKT_PKT0_PS1_PS4_
; %bb.0:
	s_load_b256 s[0:7], s[0:1], 0x0
	v_dual_mov_b32 v14, 0 :: v_dual_lshlrev_b32 v19, 3, v0
	v_or_b32_e32 v22, 31, v0
	s_delay_alu instid0(VALU_DEP_2) | instskip(NEXT) | instid1(VALU_DEP_1)
	v_lshl_or_b32 v13, s15, 11, v19
	v_lshlrev_b64 v[15:16], 2, v[13:14]
	v_lshlrev_b64 v[17:18], 1, v[13:14]
	s_waitcnt lgkmcnt(0)
	s_delay_alu instid0(VALU_DEP_2) | instskip(NEXT) | instid1(VALU_DEP_3)
	v_add_co_u32 v1, vcc_lo, s2, v15
	v_add_co_ci_u32_e32 v2, vcc_lo, s3, v16, vcc_lo
	s_delay_alu instid0(VALU_DEP_3) | instskip(NEXT) | instid1(VALU_DEP_4)
	v_add_co_u32 v5, vcc_lo, s0, v17
	v_add_co_ci_u32_e32 v6, vcc_lo, s1, v18, vcc_lo
	s_clause 0x1
	global_load_b128 v[9:12], v[1:2], off
	global_load_b128 v[1:4], v[1:2], off offset:16
	s_mov_b32 s0, exec_lo
	global_load_b128 v[5:8], v[5:6], off
	s_waitcnt vmcnt(2)
	v_add_nc_u32_e32 v14, v10, v9
	s_delay_alu instid0(VALU_DEP_1) | instskip(SKIP_1) | instid1(VALU_DEP_1)
	v_add3_u32 v14, v14, v11, v12
	s_waitcnt vmcnt(1)
	v_add3_u32 v20, v14, v1, v2
	v_mbcnt_lo_u32_b32 v14, -1, 0
	s_delay_alu instid0(VALU_DEP_2) | instskip(NEXT) | instid1(VALU_DEP_1)
	v_add3_u32 v4, v20, v3, v4
	v_mov_b32_dpp v21, v4 row_shr:1 row_mask:0xf bank_mask:0xf
	s_delay_alu instid0(VALU_DEP_3) | instskip(NEXT) | instid1(VALU_DEP_1)
	v_and_b32_e32 v20, 15, v14
	v_cmp_ne_u32_e32 vcc_lo, 0, v20
	s_delay_alu instid0(VALU_DEP_3) | instskip(SKIP_1) | instid1(VALU_DEP_2)
	v_cndmask_b32_e32 v21, 0, v21, vcc_lo
	v_cmp_lt_u32_e32 vcc_lo, 1, v20
	v_add_nc_u32_e32 v4, v21, v4
	s_delay_alu instid0(VALU_DEP_1) | instskip(NEXT) | instid1(VALU_DEP_1)
	v_mov_b32_dpp v21, v4 row_shr:2 row_mask:0xf bank_mask:0xf
	v_cndmask_b32_e32 v21, 0, v21, vcc_lo
	v_cmp_lt_u32_e32 vcc_lo, 3, v20
	s_delay_alu instid0(VALU_DEP_2) | instskip(NEXT) | instid1(VALU_DEP_1)
	v_add_nc_u32_e32 v4, v4, v21
	v_mov_b32_dpp v21, v4 row_shr:4 row_mask:0xf bank_mask:0xf
	s_delay_alu instid0(VALU_DEP_1) | instskip(SKIP_1) | instid1(VALU_DEP_2)
	v_cndmask_b32_e32 v21, 0, v21, vcc_lo
	v_cmp_lt_u32_e32 vcc_lo, 7, v20
	v_add_nc_u32_e32 v4, v4, v21
	s_delay_alu instid0(VALU_DEP_1) | instskip(NEXT) | instid1(VALU_DEP_1)
	v_mov_b32_dpp v21, v4 row_shr:8 row_mask:0xf bank_mask:0xf
	v_cndmask_b32_e32 v20, 0, v21, vcc_lo
	v_bfe_i32 v21, v14, 4, 1
	s_delay_alu instid0(VALU_DEP_2) | instskip(SKIP_4) | instid1(VALU_DEP_2)
	v_add_nc_u32_e32 v4, v4, v20
	ds_swizzle_b32 v20, v4 offset:swizzle(BROADCAST,32,15)
	s_waitcnt lgkmcnt(0)
	v_and_b32_e32 v21, v21, v20
	v_lshrrev_b32_e32 v20, 5, v0
	v_add_nc_u32_e32 v4, v4, v21
	v_cmpx_eq_u32_e64 v22, v0
	s_cbranch_execz .LBB12_2
; %bb.1:
	s_delay_alu instid0(VALU_DEP_3)
	v_lshlrev_b32_e32 v21, 2, v20
	ds_store_b32 v21, v4
.LBB12_2:
	s_or_b32 exec_lo, exec_lo, s0
	s_delay_alu instid0(SALU_CYCLE_1)
	s_mov_b32 s0, exec_lo
	s_waitcnt vmcnt(0) lgkmcnt(0)
	s_barrier
	buffer_gl0_inv
	v_cmpx_gt_u32_e32 8, v0
	s_cbranch_execz .LBB12_4
; %bb.3:
	v_lshlrev_b32_e32 v21, 2, v0
	ds_load_b32 v22, v21
	s_waitcnt lgkmcnt(0)
	v_mov_b32_dpp v24, v22 row_shr:1 row_mask:0xf bank_mask:0xf
	v_and_b32_e32 v23, 7, v14
	s_delay_alu instid0(VALU_DEP_1) | instskip(NEXT) | instid1(VALU_DEP_3)
	v_cmp_ne_u32_e32 vcc_lo, 0, v23
	v_cndmask_b32_e32 v24, 0, v24, vcc_lo
	v_cmp_lt_u32_e32 vcc_lo, 1, v23
	s_delay_alu instid0(VALU_DEP_2) | instskip(NEXT) | instid1(VALU_DEP_1)
	v_add_nc_u32_e32 v22, v24, v22
	v_mov_b32_dpp v24, v22 row_shr:2 row_mask:0xf bank_mask:0xf
	s_delay_alu instid0(VALU_DEP_1) | instskip(SKIP_1) | instid1(VALU_DEP_2)
	v_cndmask_b32_e32 v24, 0, v24, vcc_lo
	v_cmp_lt_u32_e32 vcc_lo, 3, v23
	v_add_nc_u32_e32 v22, v22, v24
	s_delay_alu instid0(VALU_DEP_1) | instskip(NEXT) | instid1(VALU_DEP_1)
	v_mov_b32_dpp v24, v22 row_shr:4 row_mask:0xf bank_mask:0xf
	v_cndmask_b32_e32 v23, 0, v24, vcc_lo
	s_delay_alu instid0(VALU_DEP_1)
	v_add_nc_u32_e32 v22, v22, v23
	ds_store_b32 v21, v22
.LBB12_4:
	s_or_b32 exec_lo, exec_lo, s0
	v_dual_mov_b32 v21, 0 :: v_dual_mov_b32 v22, 0
	s_mov_b32 s0, exec_lo
	s_waitcnt lgkmcnt(0)
	s_barrier
	buffer_gl0_inv
	v_cmpx_lt_u32_e32 31, v0
	s_cbranch_execz .LBB12_6
; %bb.5:
	v_lshl_add_u32 v20, v20, 2, -4
	ds_load_b32 v22, v20
.LBB12_6:
	s_or_b32 exec_lo, exec_lo, s0
	v_add_nc_u32_e32 v20, -1, v14
	s_waitcnt lgkmcnt(0)
	v_add_nc_u32_e32 v4, v22, v4
	s_mov_b32 s8, 0
	s_delay_alu instid0(VALU_DEP_2) | instskip(SKIP_3) | instid1(VALU_DEP_3)
	v_cmp_gt_i32_e32 vcc_lo, 0, v20
	v_cndmask_b32_e32 v20, v20, v14, vcc_lo
	v_cmp_eq_u32_e32 vcc_lo, 0, v14
	v_lshlrev_b32_e32 v14, 2, v19
	v_lshlrev_b32_e32 v20, 2, v20
	s_delay_alu instid0(VALU_DEP_2)
	v_add_nc_u32_e32 v23, 0x1010, v14
	ds_bpermute_b32 v4, v20, v4
	v_lshlrev_b32_e32 v20, 1, v19
	s_waitcnt lgkmcnt(0)
	v_cndmask_b32_e32 v4, v4, v22, vcc_lo
	v_cmp_ne_u32_e32 vcc_lo, 0, v0
	v_add_nc_u32_e32 v22, 0x1008, v14
	s_delay_alu instid0(VALU_DEP_3) | instskip(NEXT) | instid1(VALU_DEP_1)
	v_cndmask_b32_e32 v0, 0, v4, vcc_lo
	v_add_nc_u32_e32 v4, v0, v9
	ds_load_b32 v9, v21 offset:28
	v_add_nc_u32_e32 v21, 0x1000, v14
	v_add_nc_u32_e32 v14, 0x1018, v14
	s_waitcnt lgkmcnt(0)
	v_add_nc_u32_e32 v10, v4, v10
	s_barrier
	buffer_gl0_inv
	v_add_nc_u32_e32 v11, v10, v11
	s_delay_alu instid0(VALU_DEP_1) | instskip(NEXT) | instid1(VALU_DEP_1)
	v_add_nc_u32_e32 v12, v11, v12
	v_add_nc_u32_e32 v1, v12, v1
	v_cmp_eq_u32_e32 vcc_lo, 0, v9
	v_readfirstlane_b32 s9, v9
	s_delay_alu instid0(VALU_DEP_3) | instskip(SKIP_1) | instid1(VALU_DEP_1)
	v_add_nc_u32_e32 v2, v1, v2
	s_and_b32 vcc_lo, exec_lo, vcc_lo
	v_add_nc_u32_e32 v3, v2, v3
	ds_store_2addr_b32 v21, v0, v4 offset1:1
	ds_store_b128 v20, v[5:8]
	ds_store_2addr_b32 v22, v10, v11 offset1:1
	ds_store_2addr_b32 v23, v12, v1 offset1:1
	;; [unrolled: 1-line block ×3, first 2 shown]
	s_waitcnt lgkmcnt(0)
	s_barrier
	buffer_gl0_inv
	s_cbranch_vccnz .LBB12_55
; %bb.7:
	v_mov_b32_e32 v0, 0
	v_or_b32_e32 v6, 1, v13
	v_or_b32_e32 v7, 2, v13
	;; [unrolled: 1-line block ×4, first 2 shown]
	ds_load_b32 v10, v0 offset:8192
	v_add_co_u32 v0, vcc_lo, v15, s6
	v_mov_b32_e32 v15, 0x400
	v_add_co_ci_u32_e32 v1, vcc_lo, s7, v16, vcc_lo
	v_add_co_u32 v2, vcc_lo, v17, s4
	v_add_co_ci_u32_e32 v3, vcc_lo, s5, v18, vcc_lo
	v_add_co_u32 v0, vcc_lo, v0, 28
	s_delay_alu instid0(VALU_DEP_4) | instskip(NEXT) | instid1(VALU_DEP_4)
	v_add_co_ci_u32_e32 v1, vcc_lo, 0, v1, vcc_lo
	v_add_co_u32 v2, vcc_lo, v2, 14
	v_or_b32_e32 v11, 5, v13
	v_or_b32_e32 v12, 6, v13
	;; [unrolled: 1-line block ×3, first 2 shown]
	v_add_co_ci_u32_e32 v3, vcc_lo, 0, v3, vcc_lo
	v_mov_b32_e32 v16, 0x200
	s_mov_b32 s7, s9
	s_branch .LBB12_9
.LBB12_8:                               ;   in Loop: Header=BB12_9 Depth=1
	s_or_b32 exec_lo, exec_lo, s0
	v_add_co_u32 v0, vcc_lo, 0x2000, v0
	v_add_co_ci_u32_e32 v1, vcc_lo, 0, v1, vcc_lo
	v_add_co_u32 v2, vcc_lo, 0x1000, v2
	v_add_co_ci_u32_e32 v3, vcc_lo, 0, v3, vcc_lo
	s_addk_i32 s8, 0x800
	s_addk_i32 s7, 0xf800
	s_cmp_lt_u32 s8, s9
	s_cbranch_scc0 .LBB12_55
.LBB12_9:                               ; =>This Inner Loop Header: Depth=1
	v_add_nc_u32_e32 v17, s8, v19
	s_waitcnt lgkmcnt(0)
	s_delay_alu instid0(VALU_DEP_1) | instskip(SKIP_3) | instid1(VALU_DEP_3)
	v_cmp_gt_u32_e32 vcc_lo, v10, v17
	v_cndmask_b32_e32 v5, 0x600, v16, vcc_lo
	v_cndmask_b32_e64 v4, 0x401, 0, vcc_lo
	v_cndmask_b32_e32 v20, 0x800, v15, vcc_lo
	v_lshlrev_b32_e32 v18, 2, v5
	v_or_b32_e32 v21, 1, v5
	ds_load_b32 v18, v18 offset:4096
	s_waitcnt lgkmcnt(0)
	v_cmp_gt_u32_e32 vcc_lo, v18, v17
	v_dual_cndmask_b32 v4, v21, v4 :: v_dual_cndmask_b32 v5, v20, v5
	s_delay_alu instid0(VALU_DEP_1) | instskip(NEXT) | instid1(VALU_DEP_1)
	v_sub_nc_u32_e32 v18, v5, v4
	v_lshrrev_b16 v20, 15, v18
	s_delay_alu instid0(VALU_DEP_1) | instskip(NEXT) | instid1(VALU_DEP_1)
	v_add_nc_u16 v18, v18, v20
	v_ashrrev_i16 v18, 1, v18
	s_delay_alu instid0(VALU_DEP_1) | instskip(NEXT) | instid1(VALU_DEP_1)
	v_bfe_i32 v18, v18, 0, 16
	v_add_nc_u32_e32 v18, v4, v18
	s_delay_alu instid0(VALU_DEP_1) | instskip(NEXT) | instid1(VALU_DEP_1)
	v_min_i32_e32 v18, 0x7ff, v18
	v_lshlrev_b32_e32 v20, 2, v18
	v_add_nc_u32_e32 v21, 1, v18
	ds_load_b32 v20, v20 offset:4096
	s_waitcnt lgkmcnt(0)
	v_cmp_gt_u32_e32 vcc_lo, v20, v17
	v_cndmask_b32_e32 v4, v21, v4, vcc_lo
	v_cndmask_b32_e32 v5, v5, v18, vcc_lo
	s_delay_alu instid0(VALU_DEP_1) | instskip(NEXT) | instid1(VALU_DEP_1)
	v_sub_nc_u32_e32 v18, v5, v4
	v_lshrrev_b16 v20, 15, v18
	s_delay_alu instid0(VALU_DEP_1) | instskip(NEXT) | instid1(VALU_DEP_1)
	v_add_nc_u16 v18, v18, v20
	v_ashrrev_i16 v18, 1, v18
	s_delay_alu instid0(VALU_DEP_1) | instskip(NEXT) | instid1(VALU_DEP_1)
	v_bfe_i32 v18, v18, 0, 16
	v_add_nc_u32_e32 v18, v4, v18
	s_delay_alu instid0(VALU_DEP_1) | instskip(NEXT) | instid1(VALU_DEP_1)
	v_min_i32_e32 v18, 0x7ff, v18
	v_lshlrev_b32_e32 v20, 2, v18
	v_add_nc_u32_e32 v21, 1, v18
	ds_load_b32 v20, v20 offset:4096
	s_waitcnt lgkmcnt(0)
	v_cmp_gt_u32_e32 vcc_lo, v20, v17
	v_cndmask_b32_e32 v4, v21, v4, vcc_lo
	v_cndmask_b32_e32 v5, v5, v18, vcc_lo
	;; [unrolled: 18-line block ×6, first 2 shown]
	s_delay_alu instid0(VALU_DEP_1) | instskip(NEXT) | instid1(VALU_DEP_1)
	v_sub_nc_u32_e32 v18, v5, v4
	v_lshrrev_b16 v20, 15, v18
	s_delay_alu instid0(VALU_DEP_1) | instskip(NEXT) | instid1(VALU_DEP_1)
	v_add_nc_u16 v18, v18, v20
	v_ashrrev_i16 v18, 1, v18
	s_delay_alu instid0(VALU_DEP_1) | instskip(NEXT) | instid1(VALU_DEP_1)
	v_bfe_i32 v18, v18, 0, 16
	v_add_nc_u32_e32 v18, v4, v18
	s_delay_alu instid0(VALU_DEP_1) | instskip(NEXT) | instid1(VALU_DEP_1)
	v_min_i32_e32 v18, 0x7ff, v18
	v_add_nc_u32_e32 v21, 1, v18
	v_lshlrev_b32_e32 v20, 2, v18
	ds_load_b32 v20, v20 offset:4096
	s_waitcnt lgkmcnt(0)
	v_cmp_gt_u32_e32 vcc_lo, v20, v17
	v_cndmask_b32_e32 v4, v21, v4, vcc_lo
	v_cndmask_b32_e32 v5, v5, v18, vcc_lo
	s_delay_alu instid0(VALU_DEP_1) | instskip(NEXT) | instid1(VALU_DEP_1)
	v_sub_nc_u32_e32 v18, v5, v4
	v_lshrrev_b16 v20, 15, v18
	s_delay_alu instid0(VALU_DEP_1) | instskip(NEXT) | instid1(VALU_DEP_1)
	v_add_nc_u16 v18, v18, v20
	v_ashrrev_i16 v18, 1, v18
	s_delay_alu instid0(VALU_DEP_1) | instskip(NEXT) | instid1(VALU_DEP_1)
	v_bfe_i32 v18, v18, 0, 16
	v_add_nc_u32_e32 v18, v4, v18
	s_delay_alu instid0(VALU_DEP_1) | instskip(NEXT) | instid1(VALU_DEP_1)
	v_min_i32_e32 v18, 0x7ff, v18
	v_add_nc_u32_e32 v21, 1, v18
	v_lshlrev_b32_e32 v20, 2, v18
	ds_load_b32 v20, v20 offset:4096
	s_waitcnt lgkmcnt(0)
	v_cmp_gt_u32_e32 vcc_lo, v20, v17
	v_cndmask_b32_e32 v4, v21, v4, vcc_lo
	v_cndmask_b32_e32 v5, v5, v18, vcc_lo
	s_delay_alu instid0(VALU_DEP_1) | instskip(NEXT) | instid1(VALU_DEP_1)
	v_sub_nc_u32_e32 v18, v5, v4
	v_lshrrev_b32_e32 v20, 31, v18
	s_delay_alu instid0(VALU_DEP_1) | instskip(NEXT) | instid1(VALU_DEP_1)
	v_add_nc_u32_e32 v18, v18, v20
	v_ashrrev_i32_e32 v18, 1, v18
	s_delay_alu instid0(VALU_DEP_1) | instskip(NEXT) | instid1(VALU_DEP_1)
	v_add_nc_u32_e32 v18, v18, v4
	v_min_i32_e32 v18, 0x7ff, v18
	s_delay_alu instid0(VALU_DEP_1)
	v_add_nc_u32_e32 v21, 1, v18
	v_lshlrev_b32_e32 v20, 2, v18
	ds_load_b32 v20, v20 offset:4096
	s_waitcnt lgkmcnt(0)
	v_cmp_gt_u32_e32 vcc_lo, v20, v17
	v_add_nc_u32_e32 v20, 1, v17
	v_cndmask_b32_e32 v4, v21, v4, vcc_lo
	v_cndmask_b32_e32 v5, v5, v18, vcc_lo
	s_delay_alu instid0(VALU_DEP_1) | instskip(NEXT) | instid1(VALU_DEP_1)
	v_sub_nc_u32_e32 v5, v5, v4
	v_lshrrev_b32_e32 v18, 31, v5
	s_delay_alu instid0(VALU_DEP_1) | instskip(NEXT) | instid1(VALU_DEP_1)
	v_add_nc_u32_e32 v5, v5, v18
	v_ashrrev_i32_e32 v5, 1, v5
	s_delay_alu instid0(VALU_DEP_1) | instskip(NEXT) | instid1(VALU_DEP_1)
	v_add_nc_u32_e32 v5, v5, v4
	v_min_i32_e32 v5, 0x7ff, v5
	s_delay_alu instid0(VALU_DEP_1)
	v_lshlrev_b32_e32 v18, 2, v5
	v_add_nc_u32_e32 v5, 1, v5
	ds_load_b32 v18, v18 offset:4096
	s_waitcnt lgkmcnt(0)
	v_cmp_gt_u32_e32 vcc_lo, v18, v17
	v_cndmask_b32_e32 v27, v5, v4, vcc_lo
	s_delay_alu instid0(VALU_DEP_1) | instskip(SKIP_1) | instid1(VALU_DEP_2)
	v_lshlrev_b32_e32 v21, 2, v27
	v_lshl_add_u32 v18, v27, 1, -2
	v_add_nc_u32_e32 v4, 0xffc, v21
	ds_load_u16 v24, v18
	ds_load_2addr_b32 v[4:5], v4 offset1:1
	s_waitcnt lgkmcnt(1)
	v_mov_b32_e32 v25, v24
	s_waitcnt lgkmcnt(0)
	v_sub_nc_u32_e32 v18, v17, v4
	v_cmp_eq_u32_e32 vcc_lo, v20, v5
	s_delay_alu instid0(VALU_DEP_2)
	v_mov_b32_e32 v20, v18
	s_and_saveexec_b32 s0, vcc_lo
	s_cbranch_execz .LBB12_11
; %bb.10:                               ;   in Loop: Header=BB12_9 Depth=1
	v_lshlrev_b32_e32 v4, 1, v27
	v_add_nc_u32_e32 v27, 1, v27
	v_sub_nc_u32_e32 v20, v17, v5
	ds_load_b32 v21, v21 offset:4100
	ds_load_u16 v25, v4
	s_waitcnt lgkmcnt(1)
	v_mov_b32_e32 v5, v21
.LBB12_11:                              ;   in Loop: Header=BB12_9 Depth=1
	s_or_b32 exec_lo, exec_lo, s0
	s_delay_alu instid0(VALU_DEP_1) | instskip(SKIP_3) | instid1(VALU_DEP_2)
	v_dual_mov_b32 v21, v20 :: v_dual_add_nc_u32 v4, 2, v17
	s_waitcnt lgkmcnt(0)
	v_mov_b32_e32 v28, v25
	s_mov_b32 s0, exec_lo
	v_cmpx_eq_u32_e64 v4, v5
	s_cbranch_execz .LBB12_13
; %bb.12:                               ;   in Loop: Header=BB12_9 Depth=1
	v_lshlrev_b32_e32 v4, 1, v27
	v_add_nc_u32_e32 v27, 1, v27
	s_delay_alu instid0(VALU_DEP_1)
	v_lshlrev_b32_e32 v21, 2, v27
	ds_load_b32 v22, v21 offset:4096
	ds_load_u16 v28, v4
	v_sub_nc_u32_e32 v21, v17, v5
	s_waitcnt lgkmcnt(1)
	v_mov_b32_e32 v5, v22
.LBB12_13:                              ;   in Loop: Header=BB12_9 Depth=1
	s_or_b32 exec_lo, exec_lo, s0
	s_waitcnt lgkmcnt(0)
	v_dual_mov_b32 v29, v28 :: v_dual_add_nc_u32 v4, 3, v17
	v_mov_b32_e32 v22, v21
	s_mov_b32 s0, exec_lo
	s_delay_alu instid0(VALU_DEP_2)
	v_cmpx_eq_u32_e64 v4, v5
	s_cbranch_execz .LBB12_15
; %bb.14:                               ;   in Loop: Header=BB12_9 Depth=1
	v_lshl_add_u32 v4, v27, 2, 0x1000
	v_lshlrev_b32_e32 v22, 1, v27
	v_add_nc_u32_e32 v27, 1, v27
	ds_load_2addr_b32 v[4:5], v4 offset1:1
	ds_load_u16 v29, v22
	s_waitcnt lgkmcnt(1)
	v_sub_nc_u32_e32 v22, v17, v4
.LBB12_15:                              ;   in Loop: Header=BB12_9 Depth=1
	s_or_b32 exec_lo, exec_lo, s0
	s_delay_alu instid0(VALU_DEP_1) | instskip(SKIP_3) | instid1(VALU_DEP_2)
	v_dual_mov_b32 v23, v22 :: v_dual_add_nc_u32 v4, 4, v17
	s_waitcnt lgkmcnt(0)
	v_mov_b32_e32 v31, v29
	s_mov_b32 s0, exec_lo
	v_cmpx_eq_u32_e64 v4, v5
	s_cbranch_execz .LBB12_17
; %bb.16:                               ;   in Loop: Header=BB12_9 Depth=1
	v_lshl_add_u32 v4, v27, 2, 0x1000
	v_lshlrev_b32_e32 v23, 1, v27
	v_add_nc_u32_e32 v27, 1, v27
	ds_load_2addr_b32 v[4:5], v4 offset1:1
	ds_load_u16 v31, v23
	s_waitcnt lgkmcnt(1)
	v_sub_nc_u32_e32 v23, v17, v4
.LBB12_17:                              ;   in Loop: Header=BB12_9 Depth=1
	s_or_b32 exec_lo, exec_lo, s0
	v_add_nc_u32_e32 v4, 5, v17
	s_delay_alu instid0(VALU_DEP_2)
	v_mov_b32_e32 v26, v23
	s_waitcnt lgkmcnt(0)
	v_mov_b32_e32 v32, v31
	s_mov_b32 s0, exec_lo
	v_cmpx_eq_u32_e64 v4, v5
	s_cbranch_execz .LBB12_19
; %bb.18:                               ;   in Loop: Header=BB12_9 Depth=1
	v_lshl_add_u32 v4, v27, 2, 0x1000
	v_lshlrev_b32_e32 v26, 1, v27
	v_add_nc_u32_e32 v27, 1, v27
	ds_load_2addr_b32 v[4:5], v4 offset1:1
	ds_load_u16 v32, v26
	s_waitcnt lgkmcnt(1)
	v_sub_nc_u32_e32 v26, v17, v4
.LBB12_19:                              ;   in Loop: Header=BB12_9 Depth=1
	s_or_b32 exec_lo, exec_lo, s0
	s_waitcnt lgkmcnt(0)
	v_dual_mov_b32 v33, v32 :: v_dual_add_nc_u32 v30, 6, v17
	s_delay_alu instid0(VALU_DEP_2) | instskip(SKIP_1) | instid1(VALU_DEP_2)
	v_mov_b32_e32 v4, v26
	s_mov_b32 s0, exec_lo
	v_cmpx_eq_u32_e64 v30, v5
	s_cbranch_execz .LBB12_21
; %bb.20:                               ;   in Loop: Header=BB12_9 Depth=1
	v_lshl_add_u32 v4, v27, 2, 0x1000
	v_lshlrev_b32_e32 v30, 1, v27
	v_add_nc_u32_e32 v27, 1, v27
	ds_load_2addr_b32 v[4:5], v4 offset1:1
	ds_load_u16 v33, v30
	s_waitcnt lgkmcnt(1)
	v_sub_nc_u32_e32 v4, v17, v4
.LBB12_21:                              ;   in Loop: Header=BB12_9 Depth=1
	s_or_b32 exec_lo, exec_lo, s0
	v_add_nc_u32_e32 v34, 7, v17
	s_delay_alu instid0(VALU_DEP_2) | instskip(NEXT) | instid1(VALU_DEP_2)
	v_mov_b32_e32 v30, v4
	v_cmp_eq_u32_e32 vcc_lo, v34, v5
	s_waitcnt lgkmcnt(0)
	v_mov_b32_e32 v5, v33
	s_and_saveexec_b32 s0, vcc_lo
	s_cbranch_execz .LBB12_23
; %bb.22:                               ;   in Loop: Header=BB12_9 Depth=1
	v_lshlrev_b32_e32 v5, 2, v27
	v_lshlrev_b32_e32 v27, 1, v27
	ds_load_b32 v30, v5 offset:4096
	ds_load_u16 v5, v27
	s_waitcnt lgkmcnt(1)
	v_sub_nc_u32_e32 v30, v17, v30
.LBB12_23:                              ;   in Loop: Header=BB12_9 Depth=1
	s_or_b32 exec_lo, exec_lo, s0
	s_min_u32 s6, s7, 0x800
	s_delay_alu instid0(SALU_CYCLE_1)
	v_cmp_gt_u32_e32 vcc_lo, s6, v13
	s_and_saveexec_b32 s0, vcc_lo
	s_cbranch_execnz .LBB12_39
; %bb.24:                               ;   in Loop: Header=BB12_9 Depth=1
	s_or_b32 exec_lo, exec_lo, s0
	v_cmp_gt_u32_e64 s0, s6, v6
	s_delay_alu instid0(VALU_DEP_1)
	s_and_saveexec_b32 s1, s0
	s_cbranch_execnz .LBB12_40
.LBB12_25:                              ;   in Loop: Header=BB12_9 Depth=1
	s_or_b32 exec_lo, exec_lo, s1
	v_cmp_gt_u32_e64 s1, s6, v7
	s_delay_alu instid0(VALU_DEP_1)
	s_and_saveexec_b32 s2, s1
	s_cbranch_execnz .LBB12_41
.LBB12_26:                              ;   in Loop: Header=BB12_9 Depth=1
	s_or_b32 exec_lo, exec_lo, s2
	v_cmp_gt_u32_e64 s2, s6, v8
	s_delay_alu instid0(VALU_DEP_1)
	s_and_saveexec_b32 s3, s2
	s_cbranch_execnz .LBB12_42
.LBB12_27:                              ;   in Loop: Header=BB12_9 Depth=1
	s_or_b32 exec_lo, exec_lo, s3
	v_cmp_gt_u32_e64 s3, s6, v9
	s_delay_alu instid0(VALU_DEP_1)
	s_and_saveexec_b32 s4, s3
	s_cbranch_execnz .LBB12_43
.LBB12_28:                              ;   in Loop: Header=BB12_9 Depth=1
	s_or_b32 exec_lo, exec_lo, s4
	v_cmp_gt_u32_e64 s4, s6, v11
	s_delay_alu instid0(VALU_DEP_1)
	s_and_saveexec_b32 s5, s4
	s_cbranch_execnz .LBB12_44
.LBB12_29:                              ;   in Loop: Header=BB12_9 Depth=1
	s_or_b32 exec_lo, exec_lo, s5
	v_cmp_gt_u32_e64 s5, s6, v12
	s_delay_alu instid0(VALU_DEP_1)
	s_and_saveexec_b32 s10, s5
	s_cbranch_execnz .LBB12_45
.LBB12_30:                              ;   in Loop: Header=BB12_9 Depth=1
	s_or_b32 exec_lo, exec_lo, s10
	v_cmp_gt_u32_e64 s6, s6, v14
	s_delay_alu instid0(VALU_DEP_1)
	s_and_saveexec_b32 s10, s6
	s_cbranch_execnz .LBB12_46
.LBB12_31:                              ;   in Loop: Header=BB12_9 Depth=1
	s_or_b32 exec_lo, exec_lo, s10
	s_and_saveexec_b32 s10, vcc_lo
	s_cbranch_execnz .LBB12_47
.LBB12_32:                              ;   in Loop: Header=BB12_9 Depth=1
	s_or_b32 exec_lo, exec_lo, s10
	s_and_saveexec_b32 s10, s0
	s_cbranch_execnz .LBB12_48
.LBB12_33:                              ;   in Loop: Header=BB12_9 Depth=1
	s_or_b32 exec_lo, exec_lo, s10
	s_and_saveexec_b32 s0, s1
	s_cbranch_execnz .LBB12_49
.LBB12_34:                              ;   in Loop: Header=BB12_9 Depth=1
	s_or_b32 exec_lo, exec_lo, s0
	s_and_saveexec_b32 s0, s2
	s_cbranch_execnz .LBB12_50
.LBB12_35:                              ;   in Loop: Header=BB12_9 Depth=1
	s_or_b32 exec_lo, exec_lo, s0
	s_and_saveexec_b32 s0, s3
	s_cbranch_execnz .LBB12_51
.LBB12_36:                              ;   in Loop: Header=BB12_9 Depth=1
	s_or_b32 exec_lo, exec_lo, s0
	s_and_saveexec_b32 s0, s4
	s_cbranch_execnz .LBB12_52
.LBB12_37:                              ;   in Loop: Header=BB12_9 Depth=1
	s_or_b32 exec_lo, exec_lo, s0
	s_and_saveexec_b32 s0, s5
	s_cbranch_execnz .LBB12_53
.LBB12_38:                              ;   in Loop: Header=BB12_9 Depth=1
	s_or_b32 exec_lo, exec_lo, s0
	s_and_saveexec_b32 s0, s6
	s_cbranch_execz .LBB12_8
	s_branch .LBB12_54
.LBB12_39:                              ;   in Loop: Header=BB12_9 Depth=1
	global_store_b16 v[2:3], v24, off offset:-14
	s_or_b32 exec_lo, exec_lo, s0
	v_cmp_gt_u32_e64 s0, s6, v6
	s_delay_alu instid0(VALU_DEP_1)
	s_and_saveexec_b32 s1, s0
	s_cbranch_execz .LBB12_25
.LBB12_40:                              ;   in Loop: Header=BB12_9 Depth=1
	global_store_b16 v[2:3], v25, off offset:-12
	s_or_b32 exec_lo, exec_lo, s1
	v_cmp_gt_u32_e64 s1, s6, v7
	s_delay_alu instid0(VALU_DEP_1)
	s_and_saveexec_b32 s2, s1
	s_cbranch_execz .LBB12_26
.LBB12_41:                              ;   in Loop: Header=BB12_9 Depth=1
	global_store_b16 v[2:3], v28, off offset:-10
	s_or_b32 exec_lo, exec_lo, s2
	v_cmp_gt_u32_e64 s2, s6, v8
	s_delay_alu instid0(VALU_DEP_1)
	s_and_saveexec_b32 s3, s2
	s_cbranch_execz .LBB12_27
.LBB12_42:                              ;   in Loop: Header=BB12_9 Depth=1
	global_store_b16 v[2:3], v29, off offset:-8
	s_or_b32 exec_lo, exec_lo, s3
	v_cmp_gt_u32_e64 s3, s6, v9
	s_delay_alu instid0(VALU_DEP_1)
	s_and_saveexec_b32 s4, s3
	s_cbranch_execz .LBB12_28
.LBB12_43:                              ;   in Loop: Header=BB12_9 Depth=1
	global_store_b16 v[2:3], v31, off offset:-6
	s_or_b32 exec_lo, exec_lo, s4
	v_cmp_gt_u32_e64 s4, s6, v11
	s_delay_alu instid0(VALU_DEP_1)
	s_and_saveexec_b32 s5, s4
	s_cbranch_execz .LBB12_29
.LBB12_44:                              ;   in Loop: Header=BB12_9 Depth=1
	global_store_b16 v[2:3], v32, off offset:-4
	s_or_b32 exec_lo, exec_lo, s5
	v_cmp_gt_u32_e64 s5, s6, v12
	s_delay_alu instid0(VALU_DEP_1)
	s_and_saveexec_b32 s10, s5
	s_cbranch_execz .LBB12_30
.LBB12_45:                              ;   in Loop: Header=BB12_9 Depth=1
	global_store_b16 v[2:3], v33, off offset:-2
	s_or_b32 exec_lo, exec_lo, s10
	v_cmp_gt_u32_e64 s6, s6, v14
	s_delay_alu instid0(VALU_DEP_1)
	s_and_saveexec_b32 s10, s6
	s_cbranch_execz .LBB12_31
.LBB12_46:                              ;   in Loop: Header=BB12_9 Depth=1
	s_waitcnt lgkmcnt(0)
	global_store_b16 v[2:3], v5, off
	s_or_b32 exec_lo, exec_lo, s10
	s_and_saveexec_b32 s10, vcc_lo
	s_cbranch_execz .LBB12_32
.LBB12_47:                              ;   in Loop: Header=BB12_9 Depth=1
	global_store_b32 v[0:1], v18, off offset:-28
	s_or_b32 exec_lo, exec_lo, s10
	s_and_saveexec_b32 s10, s0
	s_cbranch_execz .LBB12_33
.LBB12_48:                              ;   in Loop: Header=BB12_9 Depth=1
	s_waitcnt lgkmcnt(0)
	v_add_nc_u32_e32 v5, 1, v20
	global_store_b32 v[0:1], v5, off offset:-24
	s_or_b32 exec_lo, exec_lo, s10
	s_and_saveexec_b32 s0, s1
	s_cbranch_execz .LBB12_34
.LBB12_49:                              ;   in Loop: Header=BB12_9 Depth=1
	s_waitcnt lgkmcnt(0)
	v_add_nc_u32_e32 v5, 2, v21
	global_store_b32 v[0:1], v5, off offset:-20
	s_or_b32 exec_lo, exec_lo, s0
	s_and_saveexec_b32 s0, s2
	s_cbranch_execz .LBB12_35
.LBB12_50:                              ;   in Loop: Header=BB12_9 Depth=1
	s_waitcnt lgkmcnt(0)
	v_add_nc_u32_e32 v5, 3, v22
	global_store_b32 v[0:1], v5, off offset:-16
	s_or_b32 exec_lo, exec_lo, s0
	s_and_saveexec_b32 s0, s3
	s_cbranch_execz .LBB12_36
.LBB12_51:                              ;   in Loop: Header=BB12_9 Depth=1
	s_waitcnt lgkmcnt(0)
	v_add_nc_u32_e32 v5, 4, v23
	global_store_b32 v[0:1], v5, off offset:-12
	s_or_b32 exec_lo, exec_lo, s0
	s_and_saveexec_b32 s0, s4
	s_cbranch_execz .LBB12_37
.LBB12_52:                              ;   in Loop: Header=BB12_9 Depth=1
	s_waitcnt lgkmcnt(0)
	v_add_nc_u32_e32 v5, 5, v26
	global_store_b32 v[0:1], v5, off offset:-8
	s_or_b32 exec_lo, exec_lo, s0
	s_and_saveexec_b32 s0, s5
	s_cbranch_execz .LBB12_38
.LBB12_53:                              ;   in Loop: Header=BB12_9 Depth=1
	v_add_nc_u32_e32 v4, 6, v4
	global_store_b32 v[0:1], v4, off offset:-4
	s_or_b32 exec_lo, exec_lo, s0
	s_and_saveexec_b32 s0, s6
	s_cbranch_execz .LBB12_8
.LBB12_54:                              ;   in Loop: Header=BB12_9 Depth=1
	v_add_nc_u32_e32 v4, 7, v30
	global_store_b32 v[0:1], v4, off
	s_branch .LBB12_8
.LBB12_55:
	s_nop 0
	s_sendmsg sendmsg(MSG_DEALLOC_VGPRS)
	s_endpgm
	.section	.rodata,"a",@progbits
	.p2align	6, 0x0
	.amdhsa_kernel _Z30block_run_length_decode_kernelI12hip_bfloat16iLj256ELj8ELj8EEvPKT_PKT0_PS1_PS4_
		.amdhsa_group_segment_fixed_size 12288
		.amdhsa_private_segment_fixed_size 0
		.amdhsa_kernarg_size 32
		.amdhsa_user_sgpr_count 15
		.amdhsa_user_sgpr_dispatch_ptr 0
		.amdhsa_user_sgpr_queue_ptr 0
		.amdhsa_user_sgpr_kernarg_segment_ptr 1
		.amdhsa_user_sgpr_dispatch_id 0
		.amdhsa_user_sgpr_private_segment_size 0
		.amdhsa_wavefront_size32 1
		.amdhsa_uses_dynamic_stack 0
		.amdhsa_enable_private_segment 0
		.amdhsa_system_sgpr_workgroup_id_x 1
		.amdhsa_system_sgpr_workgroup_id_y 0
		.amdhsa_system_sgpr_workgroup_id_z 0
		.amdhsa_system_sgpr_workgroup_info 0
		.amdhsa_system_vgpr_workitem_id 0
		.amdhsa_next_free_vgpr 35
		.amdhsa_next_free_sgpr 16
		.amdhsa_reserve_vcc 1
		.amdhsa_float_round_mode_32 0
		.amdhsa_float_round_mode_16_64 0
		.amdhsa_float_denorm_mode_32 3
		.amdhsa_float_denorm_mode_16_64 3
		.amdhsa_dx10_clamp 1
		.amdhsa_ieee_mode 1
		.amdhsa_fp16_overflow 0
		.amdhsa_workgroup_processor_mode 1
		.amdhsa_memory_ordered 1
		.amdhsa_forward_progress 0
		.amdhsa_shared_vgpr_count 0
		.amdhsa_exception_fp_ieee_invalid_op 0
		.amdhsa_exception_fp_denorm_src 0
		.amdhsa_exception_fp_ieee_div_zero 0
		.amdhsa_exception_fp_ieee_overflow 0
		.amdhsa_exception_fp_ieee_underflow 0
		.amdhsa_exception_fp_ieee_inexact 0
		.amdhsa_exception_int_div_zero 0
	.end_amdhsa_kernel
	.section	.text._Z30block_run_length_decode_kernelI12hip_bfloat16iLj256ELj8ELj8EEvPKT_PKT0_PS1_PS4_,"axG",@progbits,_Z30block_run_length_decode_kernelI12hip_bfloat16iLj256ELj8ELj8EEvPKT_PKT0_PS1_PS4_,comdat
.Lfunc_end12:
	.size	_Z30block_run_length_decode_kernelI12hip_bfloat16iLj256ELj8ELj8EEvPKT_PKT0_PS1_PS4_, .Lfunc_end12-_Z30block_run_length_decode_kernelI12hip_bfloat16iLj256ELj8ELj8EEvPKT_PKT0_PS1_PS4_
                                        ; -- End function
	.section	.AMDGPU.csdata,"",@progbits
; Kernel info:
; codeLenInByte = 3304
; NumSgprs: 18
; NumVgprs: 35
; ScratchSize: 0
; MemoryBound: 0
; FloatMode: 240
; IeeeMode: 1
; LDSByteSize: 12288 bytes/workgroup (compile time only)
; SGPRBlocks: 2
; VGPRBlocks: 4
; NumSGPRsForWavesPerEU: 18
; NumVGPRsForWavesPerEU: 35
; Occupancy: 16
; WaveLimiterHint : 0
; COMPUTE_PGM_RSRC2:SCRATCH_EN: 0
; COMPUTE_PGM_RSRC2:USER_SGPR: 15
; COMPUTE_PGM_RSRC2:TRAP_HANDLER: 0
; COMPUTE_PGM_RSRC2:TGID_X_EN: 1
; COMPUTE_PGM_RSRC2:TGID_Y_EN: 0
; COMPUTE_PGM_RSRC2:TGID_Z_EN: 0
; COMPUTE_PGM_RSRC2:TIDIG_COMP_CNT: 0
	.section	.text._Z30block_run_length_decode_kernelI6__halfiLj256ELj8ELj8EEvPKT_PKT0_PS1_PS4_,"axG",@progbits,_Z30block_run_length_decode_kernelI6__halfiLj256ELj8ELj8EEvPKT_PKT0_PS1_PS4_,comdat
	.protected	_Z30block_run_length_decode_kernelI6__halfiLj256ELj8ELj8EEvPKT_PKT0_PS1_PS4_ ; -- Begin function _Z30block_run_length_decode_kernelI6__halfiLj256ELj8ELj8EEvPKT_PKT0_PS1_PS4_
	.globl	_Z30block_run_length_decode_kernelI6__halfiLj256ELj8ELj8EEvPKT_PKT0_PS1_PS4_
	.p2align	8
	.type	_Z30block_run_length_decode_kernelI6__halfiLj256ELj8ELj8EEvPKT_PKT0_PS1_PS4_,@function
_Z30block_run_length_decode_kernelI6__halfiLj256ELj8ELj8EEvPKT_PKT0_PS1_PS4_: ; @_Z30block_run_length_decode_kernelI6__halfiLj256ELj8ELj8EEvPKT_PKT0_PS1_PS4_
; %bb.0:
	s_load_b256 s[0:7], s[0:1], 0x0
	v_dual_mov_b32 v14, 0 :: v_dual_lshlrev_b32 v19, 3, v0
	v_or_b32_e32 v22, 31, v0
	s_delay_alu instid0(VALU_DEP_2) | instskip(NEXT) | instid1(VALU_DEP_1)
	v_lshl_or_b32 v13, s15, 11, v19
	v_lshlrev_b64 v[15:16], 2, v[13:14]
	v_lshlrev_b64 v[17:18], 1, v[13:14]
	s_waitcnt lgkmcnt(0)
	s_delay_alu instid0(VALU_DEP_2) | instskip(NEXT) | instid1(VALU_DEP_3)
	v_add_co_u32 v1, vcc_lo, s2, v15
	v_add_co_ci_u32_e32 v2, vcc_lo, s3, v16, vcc_lo
	s_delay_alu instid0(VALU_DEP_3) | instskip(NEXT) | instid1(VALU_DEP_4)
	v_add_co_u32 v5, vcc_lo, s0, v17
	v_add_co_ci_u32_e32 v6, vcc_lo, s1, v18, vcc_lo
	s_clause 0x1
	global_load_b128 v[9:12], v[1:2], off
	global_load_b128 v[1:4], v[1:2], off offset:16
	s_mov_b32 s0, exec_lo
	global_load_b128 v[5:8], v[5:6], off
	s_waitcnt vmcnt(2)
	v_add_nc_u32_e32 v14, v10, v9
	s_delay_alu instid0(VALU_DEP_1) | instskip(SKIP_1) | instid1(VALU_DEP_1)
	v_add3_u32 v14, v14, v11, v12
	s_waitcnt vmcnt(1)
	v_add3_u32 v20, v14, v1, v2
	v_mbcnt_lo_u32_b32 v14, -1, 0
	s_delay_alu instid0(VALU_DEP_2) | instskip(NEXT) | instid1(VALU_DEP_1)
	v_add3_u32 v4, v20, v3, v4
	v_mov_b32_dpp v21, v4 row_shr:1 row_mask:0xf bank_mask:0xf
	s_delay_alu instid0(VALU_DEP_3) | instskip(NEXT) | instid1(VALU_DEP_1)
	v_and_b32_e32 v20, 15, v14
	v_cmp_ne_u32_e32 vcc_lo, 0, v20
	s_delay_alu instid0(VALU_DEP_3) | instskip(SKIP_1) | instid1(VALU_DEP_2)
	v_cndmask_b32_e32 v21, 0, v21, vcc_lo
	v_cmp_lt_u32_e32 vcc_lo, 1, v20
	v_add_nc_u32_e32 v4, v21, v4
	s_delay_alu instid0(VALU_DEP_1) | instskip(NEXT) | instid1(VALU_DEP_1)
	v_mov_b32_dpp v21, v4 row_shr:2 row_mask:0xf bank_mask:0xf
	v_cndmask_b32_e32 v21, 0, v21, vcc_lo
	v_cmp_lt_u32_e32 vcc_lo, 3, v20
	s_delay_alu instid0(VALU_DEP_2) | instskip(NEXT) | instid1(VALU_DEP_1)
	v_add_nc_u32_e32 v4, v4, v21
	v_mov_b32_dpp v21, v4 row_shr:4 row_mask:0xf bank_mask:0xf
	s_delay_alu instid0(VALU_DEP_1) | instskip(SKIP_1) | instid1(VALU_DEP_2)
	v_cndmask_b32_e32 v21, 0, v21, vcc_lo
	v_cmp_lt_u32_e32 vcc_lo, 7, v20
	v_add_nc_u32_e32 v4, v4, v21
	s_delay_alu instid0(VALU_DEP_1) | instskip(NEXT) | instid1(VALU_DEP_1)
	v_mov_b32_dpp v21, v4 row_shr:8 row_mask:0xf bank_mask:0xf
	v_cndmask_b32_e32 v20, 0, v21, vcc_lo
	v_bfe_i32 v21, v14, 4, 1
	s_delay_alu instid0(VALU_DEP_2) | instskip(SKIP_4) | instid1(VALU_DEP_2)
	v_add_nc_u32_e32 v4, v4, v20
	ds_swizzle_b32 v20, v4 offset:swizzle(BROADCAST,32,15)
	s_waitcnt lgkmcnt(0)
	v_and_b32_e32 v21, v21, v20
	v_lshrrev_b32_e32 v20, 5, v0
	v_add_nc_u32_e32 v4, v4, v21
	v_cmpx_eq_u32_e64 v22, v0
	s_cbranch_execz .LBB13_2
; %bb.1:
	s_delay_alu instid0(VALU_DEP_3)
	v_lshlrev_b32_e32 v21, 2, v20
	ds_store_b32 v21, v4
.LBB13_2:
	s_or_b32 exec_lo, exec_lo, s0
	s_delay_alu instid0(SALU_CYCLE_1)
	s_mov_b32 s0, exec_lo
	s_waitcnt vmcnt(0) lgkmcnt(0)
	s_barrier
	buffer_gl0_inv
	v_cmpx_gt_u32_e32 8, v0
	s_cbranch_execz .LBB13_4
; %bb.3:
	v_lshlrev_b32_e32 v21, 2, v0
	ds_load_b32 v22, v21
	s_waitcnt lgkmcnt(0)
	v_mov_b32_dpp v24, v22 row_shr:1 row_mask:0xf bank_mask:0xf
	v_and_b32_e32 v23, 7, v14
	s_delay_alu instid0(VALU_DEP_1) | instskip(NEXT) | instid1(VALU_DEP_3)
	v_cmp_ne_u32_e32 vcc_lo, 0, v23
	v_cndmask_b32_e32 v24, 0, v24, vcc_lo
	v_cmp_lt_u32_e32 vcc_lo, 1, v23
	s_delay_alu instid0(VALU_DEP_2) | instskip(NEXT) | instid1(VALU_DEP_1)
	v_add_nc_u32_e32 v22, v24, v22
	v_mov_b32_dpp v24, v22 row_shr:2 row_mask:0xf bank_mask:0xf
	s_delay_alu instid0(VALU_DEP_1) | instskip(SKIP_1) | instid1(VALU_DEP_2)
	v_cndmask_b32_e32 v24, 0, v24, vcc_lo
	v_cmp_lt_u32_e32 vcc_lo, 3, v23
	v_add_nc_u32_e32 v22, v22, v24
	s_delay_alu instid0(VALU_DEP_1) | instskip(NEXT) | instid1(VALU_DEP_1)
	v_mov_b32_dpp v24, v22 row_shr:4 row_mask:0xf bank_mask:0xf
	v_cndmask_b32_e32 v23, 0, v24, vcc_lo
	s_delay_alu instid0(VALU_DEP_1)
	v_add_nc_u32_e32 v22, v22, v23
	ds_store_b32 v21, v22
.LBB13_4:
	s_or_b32 exec_lo, exec_lo, s0
	v_dual_mov_b32 v21, 0 :: v_dual_mov_b32 v22, 0
	s_mov_b32 s0, exec_lo
	s_waitcnt lgkmcnt(0)
	s_barrier
	buffer_gl0_inv
	v_cmpx_lt_u32_e32 31, v0
	s_cbranch_execz .LBB13_6
; %bb.5:
	v_lshl_add_u32 v20, v20, 2, -4
	ds_load_b32 v22, v20
.LBB13_6:
	s_or_b32 exec_lo, exec_lo, s0
	v_add_nc_u32_e32 v20, -1, v14
	s_waitcnt lgkmcnt(0)
	v_add_nc_u32_e32 v4, v22, v4
	s_mov_b32 s8, 0
	s_delay_alu instid0(VALU_DEP_2) | instskip(SKIP_3) | instid1(VALU_DEP_3)
	v_cmp_gt_i32_e32 vcc_lo, 0, v20
	v_cndmask_b32_e32 v20, v20, v14, vcc_lo
	v_cmp_eq_u32_e32 vcc_lo, 0, v14
	v_lshlrev_b32_e32 v14, 2, v19
	v_lshlrev_b32_e32 v20, 2, v20
	s_delay_alu instid0(VALU_DEP_2)
	v_add_nc_u32_e32 v23, 0x1010, v14
	ds_bpermute_b32 v4, v20, v4
	v_lshlrev_b32_e32 v20, 1, v19
	s_waitcnt lgkmcnt(0)
	v_cndmask_b32_e32 v4, v4, v22, vcc_lo
	v_cmp_ne_u32_e32 vcc_lo, 0, v0
	v_add_nc_u32_e32 v22, 0x1008, v14
	s_delay_alu instid0(VALU_DEP_3) | instskip(NEXT) | instid1(VALU_DEP_1)
	v_cndmask_b32_e32 v0, 0, v4, vcc_lo
	v_add_nc_u32_e32 v4, v0, v9
	ds_load_b32 v9, v21 offset:28
	v_add_nc_u32_e32 v21, 0x1000, v14
	v_add_nc_u32_e32 v14, 0x1018, v14
	s_waitcnt lgkmcnt(0)
	v_add_nc_u32_e32 v10, v4, v10
	s_barrier
	buffer_gl0_inv
	v_add_nc_u32_e32 v11, v10, v11
	s_delay_alu instid0(VALU_DEP_1) | instskip(NEXT) | instid1(VALU_DEP_1)
	v_add_nc_u32_e32 v12, v11, v12
	v_add_nc_u32_e32 v1, v12, v1
	v_cmp_eq_u32_e32 vcc_lo, 0, v9
	v_readfirstlane_b32 s9, v9
	s_delay_alu instid0(VALU_DEP_3) | instskip(SKIP_1) | instid1(VALU_DEP_1)
	v_add_nc_u32_e32 v2, v1, v2
	s_and_b32 vcc_lo, exec_lo, vcc_lo
	v_add_nc_u32_e32 v3, v2, v3
	ds_store_2addr_b32 v21, v0, v4 offset1:1
	ds_store_b128 v20, v[5:8]
	ds_store_2addr_b32 v22, v10, v11 offset1:1
	ds_store_2addr_b32 v23, v12, v1 offset1:1
	;; [unrolled: 1-line block ×3, first 2 shown]
	s_waitcnt lgkmcnt(0)
	s_barrier
	buffer_gl0_inv
	s_cbranch_vccnz .LBB13_55
; %bb.7:
	v_mov_b32_e32 v0, 0
	v_or_b32_e32 v6, 1, v13
	v_or_b32_e32 v7, 2, v13
	v_or_b32_e32 v8, 3, v13
	v_or_b32_e32 v9, 4, v13
	ds_load_b32 v10, v0 offset:8192
	v_add_co_u32 v0, vcc_lo, v15, s6
	v_mov_b32_e32 v15, 0x400
	v_add_co_ci_u32_e32 v1, vcc_lo, s7, v16, vcc_lo
	v_add_co_u32 v2, vcc_lo, v17, s4
	v_add_co_ci_u32_e32 v3, vcc_lo, s5, v18, vcc_lo
	v_add_co_u32 v0, vcc_lo, v0, 28
	s_delay_alu instid0(VALU_DEP_4) | instskip(NEXT) | instid1(VALU_DEP_4)
	v_add_co_ci_u32_e32 v1, vcc_lo, 0, v1, vcc_lo
	v_add_co_u32 v2, vcc_lo, v2, 14
	v_or_b32_e32 v11, 5, v13
	v_or_b32_e32 v12, 6, v13
	;; [unrolled: 1-line block ×3, first 2 shown]
	v_add_co_ci_u32_e32 v3, vcc_lo, 0, v3, vcc_lo
	v_mov_b32_e32 v16, 0x200
	s_mov_b32 s7, s9
	s_branch .LBB13_9
.LBB13_8:                               ;   in Loop: Header=BB13_9 Depth=1
	s_or_b32 exec_lo, exec_lo, s0
	v_add_co_u32 v0, vcc_lo, 0x2000, v0
	v_add_co_ci_u32_e32 v1, vcc_lo, 0, v1, vcc_lo
	v_add_co_u32 v2, vcc_lo, 0x1000, v2
	v_add_co_ci_u32_e32 v3, vcc_lo, 0, v3, vcc_lo
	s_addk_i32 s8, 0x800
	s_addk_i32 s7, 0xf800
	s_cmp_lt_u32 s8, s9
	s_cbranch_scc0 .LBB13_55
.LBB13_9:                               ; =>This Inner Loop Header: Depth=1
	v_add_nc_u32_e32 v17, s8, v19
	s_waitcnt lgkmcnt(0)
	s_delay_alu instid0(VALU_DEP_1) | instskip(SKIP_3) | instid1(VALU_DEP_3)
	v_cmp_gt_u32_e32 vcc_lo, v10, v17
	v_cndmask_b32_e32 v5, 0x600, v16, vcc_lo
	v_cndmask_b32_e64 v4, 0x401, 0, vcc_lo
	v_cndmask_b32_e32 v20, 0x800, v15, vcc_lo
	v_lshlrev_b32_e32 v18, 2, v5
	v_or_b32_e32 v21, 1, v5
	ds_load_b32 v18, v18 offset:4096
	s_waitcnt lgkmcnt(0)
	v_cmp_gt_u32_e32 vcc_lo, v18, v17
	v_dual_cndmask_b32 v4, v21, v4 :: v_dual_cndmask_b32 v5, v20, v5
	s_delay_alu instid0(VALU_DEP_1) | instskip(NEXT) | instid1(VALU_DEP_1)
	v_sub_nc_u32_e32 v18, v5, v4
	v_lshrrev_b16 v20, 15, v18
	s_delay_alu instid0(VALU_DEP_1) | instskip(NEXT) | instid1(VALU_DEP_1)
	v_add_nc_u16 v18, v18, v20
	v_ashrrev_i16 v18, 1, v18
	s_delay_alu instid0(VALU_DEP_1) | instskip(NEXT) | instid1(VALU_DEP_1)
	v_bfe_i32 v18, v18, 0, 16
	v_add_nc_u32_e32 v18, v4, v18
	s_delay_alu instid0(VALU_DEP_1) | instskip(NEXT) | instid1(VALU_DEP_1)
	v_min_i32_e32 v18, 0x7ff, v18
	v_lshlrev_b32_e32 v20, 2, v18
	v_add_nc_u32_e32 v21, 1, v18
	ds_load_b32 v20, v20 offset:4096
	s_waitcnt lgkmcnt(0)
	v_cmp_gt_u32_e32 vcc_lo, v20, v17
	v_cndmask_b32_e32 v4, v21, v4, vcc_lo
	v_cndmask_b32_e32 v5, v5, v18, vcc_lo
	s_delay_alu instid0(VALU_DEP_1) | instskip(NEXT) | instid1(VALU_DEP_1)
	v_sub_nc_u32_e32 v18, v5, v4
	v_lshrrev_b16 v20, 15, v18
	s_delay_alu instid0(VALU_DEP_1) | instskip(NEXT) | instid1(VALU_DEP_1)
	v_add_nc_u16 v18, v18, v20
	v_ashrrev_i16 v18, 1, v18
	s_delay_alu instid0(VALU_DEP_1) | instskip(NEXT) | instid1(VALU_DEP_1)
	v_bfe_i32 v18, v18, 0, 16
	v_add_nc_u32_e32 v18, v4, v18
	s_delay_alu instid0(VALU_DEP_1) | instskip(NEXT) | instid1(VALU_DEP_1)
	v_min_i32_e32 v18, 0x7ff, v18
	v_lshlrev_b32_e32 v20, 2, v18
	v_add_nc_u32_e32 v21, 1, v18
	ds_load_b32 v20, v20 offset:4096
	s_waitcnt lgkmcnt(0)
	v_cmp_gt_u32_e32 vcc_lo, v20, v17
	v_cndmask_b32_e32 v4, v21, v4, vcc_lo
	v_cndmask_b32_e32 v5, v5, v18, vcc_lo
	;; [unrolled: 18-line block ×6, first 2 shown]
	s_delay_alu instid0(VALU_DEP_1) | instskip(NEXT) | instid1(VALU_DEP_1)
	v_sub_nc_u32_e32 v18, v5, v4
	v_lshrrev_b16 v20, 15, v18
	s_delay_alu instid0(VALU_DEP_1) | instskip(NEXT) | instid1(VALU_DEP_1)
	v_add_nc_u16 v18, v18, v20
	v_ashrrev_i16 v18, 1, v18
	s_delay_alu instid0(VALU_DEP_1) | instskip(NEXT) | instid1(VALU_DEP_1)
	v_bfe_i32 v18, v18, 0, 16
	v_add_nc_u32_e32 v18, v4, v18
	s_delay_alu instid0(VALU_DEP_1) | instskip(NEXT) | instid1(VALU_DEP_1)
	v_min_i32_e32 v18, 0x7ff, v18
	v_add_nc_u32_e32 v21, 1, v18
	v_lshlrev_b32_e32 v20, 2, v18
	ds_load_b32 v20, v20 offset:4096
	s_waitcnt lgkmcnt(0)
	v_cmp_gt_u32_e32 vcc_lo, v20, v17
	v_cndmask_b32_e32 v4, v21, v4, vcc_lo
	v_cndmask_b32_e32 v5, v5, v18, vcc_lo
	s_delay_alu instid0(VALU_DEP_1) | instskip(NEXT) | instid1(VALU_DEP_1)
	v_sub_nc_u32_e32 v18, v5, v4
	v_lshrrev_b16 v20, 15, v18
	s_delay_alu instid0(VALU_DEP_1) | instskip(NEXT) | instid1(VALU_DEP_1)
	v_add_nc_u16 v18, v18, v20
	v_ashrrev_i16 v18, 1, v18
	s_delay_alu instid0(VALU_DEP_1) | instskip(NEXT) | instid1(VALU_DEP_1)
	v_bfe_i32 v18, v18, 0, 16
	v_add_nc_u32_e32 v18, v4, v18
	s_delay_alu instid0(VALU_DEP_1) | instskip(NEXT) | instid1(VALU_DEP_1)
	v_min_i32_e32 v18, 0x7ff, v18
	v_add_nc_u32_e32 v21, 1, v18
	v_lshlrev_b32_e32 v20, 2, v18
	ds_load_b32 v20, v20 offset:4096
	s_waitcnt lgkmcnt(0)
	v_cmp_gt_u32_e32 vcc_lo, v20, v17
	v_cndmask_b32_e32 v4, v21, v4, vcc_lo
	v_cndmask_b32_e32 v5, v5, v18, vcc_lo
	s_delay_alu instid0(VALU_DEP_1) | instskip(NEXT) | instid1(VALU_DEP_1)
	v_sub_nc_u32_e32 v18, v5, v4
	v_lshrrev_b32_e32 v20, 31, v18
	s_delay_alu instid0(VALU_DEP_1) | instskip(NEXT) | instid1(VALU_DEP_1)
	v_add_nc_u32_e32 v18, v18, v20
	v_ashrrev_i32_e32 v18, 1, v18
	s_delay_alu instid0(VALU_DEP_1) | instskip(NEXT) | instid1(VALU_DEP_1)
	v_add_nc_u32_e32 v18, v18, v4
	v_min_i32_e32 v18, 0x7ff, v18
	s_delay_alu instid0(VALU_DEP_1)
	v_add_nc_u32_e32 v21, 1, v18
	v_lshlrev_b32_e32 v20, 2, v18
	ds_load_b32 v20, v20 offset:4096
	s_waitcnt lgkmcnt(0)
	v_cmp_gt_u32_e32 vcc_lo, v20, v17
	v_add_nc_u32_e32 v20, 1, v17
	v_cndmask_b32_e32 v4, v21, v4, vcc_lo
	v_cndmask_b32_e32 v5, v5, v18, vcc_lo
	s_delay_alu instid0(VALU_DEP_1) | instskip(NEXT) | instid1(VALU_DEP_1)
	v_sub_nc_u32_e32 v5, v5, v4
	v_lshrrev_b32_e32 v18, 31, v5
	s_delay_alu instid0(VALU_DEP_1) | instskip(NEXT) | instid1(VALU_DEP_1)
	v_add_nc_u32_e32 v5, v5, v18
	v_ashrrev_i32_e32 v5, 1, v5
	s_delay_alu instid0(VALU_DEP_1) | instskip(NEXT) | instid1(VALU_DEP_1)
	v_add_nc_u32_e32 v5, v5, v4
	v_min_i32_e32 v5, 0x7ff, v5
	s_delay_alu instid0(VALU_DEP_1)
	v_lshlrev_b32_e32 v18, 2, v5
	v_add_nc_u32_e32 v5, 1, v5
	ds_load_b32 v18, v18 offset:4096
	s_waitcnt lgkmcnt(0)
	v_cmp_gt_u32_e32 vcc_lo, v18, v17
	v_cndmask_b32_e32 v28, v5, v4, vcc_lo
	s_delay_alu instid0(VALU_DEP_1) | instskip(SKIP_1) | instid1(VALU_DEP_2)
	v_lshlrev_b32_e32 v21, 2, v28
	v_lshl_add_u32 v18, v28, 1, -2
	v_add_nc_u32_e32 v4, 0xffc, v21
	ds_load_u16 v24, v18
	ds_load_2addr_b32 v[4:5], v4 offset1:1
	s_waitcnt lgkmcnt(1)
	v_mov_b32_e32 v25, v24
	s_waitcnt lgkmcnt(0)
	v_sub_nc_u32_e32 v18, v17, v4
	v_cmp_eq_u32_e32 vcc_lo, v20, v5
	s_delay_alu instid0(VALU_DEP_2)
	v_mov_b32_e32 v20, v18
	s_and_saveexec_b32 s0, vcc_lo
	s_cbranch_execz .LBB13_11
; %bb.10:                               ;   in Loop: Header=BB13_9 Depth=1
	v_lshlrev_b32_e32 v4, 1, v28
	v_add_nc_u32_e32 v28, 1, v28
	v_sub_nc_u32_e32 v20, v17, v5
	ds_load_b32 v21, v21 offset:4100
	ds_load_u16 v25, v4
	s_waitcnt lgkmcnt(1)
	v_mov_b32_e32 v5, v21
.LBB13_11:                              ;   in Loop: Header=BB13_9 Depth=1
	s_or_b32 exec_lo, exec_lo, s0
	s_delay_alu instid0(VALU_DEP_1) | instskip(SKIP_3) | instid1(VALU_DEP_2)
	v_dual_mov_b32 v21, v20 :: v_dual_add_nc_u32 v4, 2, v17
	s_waitcnt lgkmcnt(0)
	v_mov_b32_e32 v27, v25
	s_mov_b32 s0, exec_lo
	v_cmpx_eq_u32_e64 v4, v5
	s_cbranch_execz .LBB13_13
; %bb.12:                               ;   in Loop: Header=BB13_9 Depth=1
	v_add_nc_u32_e32 v4, 1, v28
	v_lshlrev_b32_e32 v22, 1, v28
	s_delay_alu instid0(VALU_DEP_2)
	v_lshlrev_b32_e32 v21, 2, v4
	ds_load_b32 v23, v21 offset:4096
	ds_load_u16 v27, v22
	v_sub_nc_u32_e32 v21, v17, v5
	s_waitcnt lgkmcnt(1)
	v_dual_mov_b32 v5, v23 :: v_dual_mov_b32 v28, v4
.LBB13_13:                              ;   in Loop: Header=BB13_9 Depth=1
	s_or_b32 exec_lo, exec_lo, s0
	s_waitcnt lgkmcnt(0)
	v_dual_mov_b32 v29, v27 :: v_dual_add_nc_u32 v4, 3, v17
	v_mov_b32_e32 v22, v21
	s_mov_b32 s0, exec_lo
	s_delay_alu instid0(VALU_DEP_2)
	v_cmpx_eq_u32_e64 v4, v5
	s_cbranch_execz .LBB13_15
; %bb.14:                               ;   in Loop: Header=BB13_9 Depth=1
	v_lshl_add_u32 v4, v28, 2, 0x1000
	v_lshlrev_b32_e32 v22, 1, v28
	v_add_nc_u32_e32 v28, 1, v28
	ds_load_2addr_b32 v[4:5], v4 offset1:1
	ds_load_u16 v29, v22
	s_waitcnt lgkmcnt(1)
	v_sub_nc_u32_e32 v22, v17, v4
.LBB13_15:                              ;   in Loop: Header=BB13_9 Depth=1
	s_or_b32 exec_lo, exec_lo, s0
	s_delay_alu instid0(VALU_DEP_1) | instskip(SKIP_3) | instid1(VALU_DEP_2)
	v_dual_mov_b32 v23, v22 :: v_dual_add_nc_u32 v4, 4, v17
	s_waitcnt lgkmcnt(0)
	v_mov_b32_e32 v31, v29
	s_mov_b32 s0, exec_lo
	v_cmpx_eq_u32_e64 v4, v5
	s_cbranch_execz .LBB13_17
; %bb.16:                               ;   in Loop: Header=BB13_9 Depth=1
	v_lshl_add_u32 v4, v28, 2, 0x1000
	v_lshlrev_b32_e32 v23, 1, v28
	v_add_nc_u32_e32 v28, 1, v28
	ds_load_2addr_b32 v[4:5], v4 offset1:1
	ds_load_u16 v31, v23
	s_waitcnt lgkmcnt(1)
	v_sub_nc_u32_e32 v23, v17, v4
.LBB13_17:                              ;   in Loop: Header=BB13_9 Depth=1
	s_or_b32 exec_lo, exec_lo, s0
	v_add_nc_u32_e32 v4, 5, v17
	s_delay_alu instid0(VALU_DEP_2)
	v_mov_b32_e32 v26, v23
	s_waitcnt lgkmcnt(0)
	v_mov_b32_e32 v32, v31
	s_mov_b32 s0, exec_lo
	v_cmpx_eq_u32_e64 v4, v5
	s_cbranch_execz .LBB13_19
; %bb.18:                               ;   in Loop: Header=BB13_9 Depth=1
	v_lshl_add_u32 v4, v28, 2, 0x1000
	v_lshlrev_b32_e32 v26, 1, v28
	v_add_nc_u32_e32 v28, 1, v28
	ds_load_2addr_b32 v[4:5], v4 offset1:1
	ds_load_u16 v32, v26
	s_waitcnt lgkmcnt(1)
	v_sub_nc_u32_e32 v26, v17, v4
.LBB13_19:                              ;   in Loop: Header=BB13_9 Depth=1
	s_or_b32 exec_lo, exec_lo, s0
	s_waitcnt lgkmcnt(0)
	v_dual_mov_b32 v33, v32 :: v_dual_add_nc_u32 v30, 6, v17
	s_delay_alu instid0(VALU_DEP_2) | instskip(SKIP_1) | instid1(VALU_DEP_2)
	v_mov_b32_e32 v4, v26
	s_mov_b32 s0, exec_lo
	v_cmpx_eq_u32_e64 v30, v5
	s_cbranch_execz .LBB13_21
; %bb.20:                               ;   in Loop: Header=BB13_9 Depth=1
	v_lshl_add_u32 v4, v28, 2, 0x1000
	v_lshlrev_b32_e32 v30, 1, v28
	v_add_nc_u32_e32 v28, 1, v28
	ds_load_2addr_b32 v[4:5], v4 offset1:1
	ds_load_u16 v33, v30
	s_waitcnt lgkmcnt(1)
	v_sub_nc_u32_e32 v4, v17, v4
.LBB13_21:                              ;   in Loop: Header=BB13_9 Depth=1
	s_or_b32 exec_lo, exec_lo, s0
	v_add_nc_u32_e32 v34, 7, v17
	s_delay_alu instid0(VALU_DEP_2) | instskip(NEXT) | instid1(VALU_DEP_2)
	v_mov_b32_e32 v30, v4
	v_cmp_eq_u32_e32 vcc_lo, v34, v5
	s_waitcnt lgkmcnt(0)
	v_mov_b32_e32 v5, v33
	s_and_saveexec_b32 s0, vcc_lo
	s_cbranch_execz .LBB13_23
; %bb.22:                               ;   in Loop: Header=BB13_9 Depth=1
	v_lshlrev_b32_e32 v5, 2, v28
	v_lshlrev_b32_e32 v28, 1, v28
	ds_load_b32 v30, v5 offset:4096
	ds_load_u16 v5, v28
	s_waitcnt lgkmcnt(1)
	v_sub_nc_u32_e32 v30, v17, v30
.LBB13_23:                              ;   in Loop: Header=BB13_9 Depth=1
	s_or_b32 exec_lo, exec_lo, s0
	s_min_u32 s6, s7, 0x800
	s_delay_alu instid0(SALU_CYCLE_1)
	v_cmp_gt_u32_e32 vcc_lo, s6, v13
	s_and_saveexec_b32 s0, vcc_lo
	s_cbranch_execnz .LBB13_39
; %bb.24:                               ;   in Loop: Header=BB13_9 Depth=1
	s_or_b32 exec_lo, exec_lo, s0
	v_cmp_gt_u32_e64 s0, s6, v6
	s_delay_alu instid0(VALU_DEP_1)
	s_and_saveexec_b32 s1, s0
	s_cbranch_execnz .LBB13_40
.LBB13_25:                              ;   in Loop: Header=BB13_9 Depth=1
	s_or_b32 exec_lo, exec_lo, s1
	v_cmp_gt_u32_e64 s1, s6, v7
	s_delay_alu instid0(VALU_DEP_1)
	s_and_saveexec_b32 s2, s1
	s_cbranch_execnz .LBB13_41
.LBB13_26:                              ;   in Loop: Header=BB13_9 Depth=1
	s_or_b32 exec_lo, exec_lo, s2
	v_cmp_gt_u32_e64 s2, s6, v8
	s_delay_alu instid0(VALU_DEP_1)
	s_and_saveexec_b32 s3, s2
	s_cbranch_execnz .LBB13_42
.LBB13_27:                              ;   in Loop: Header=BB13_9 Depth=1
	s_or_b32 exec_lo, exec_lo, s3
	v_cmp_gt_u32_e64 s3, s6, v9
	s_delay_alu instid0(VALU_DEP_1)
	s_and_saveexec_b32 s4, s3
	s_cbranch_execnz .LBB13_43
.LBB13_28:                              ;   in Loop: Header=BB13_9 Depth=1
	s_or_b32 exec_lo, exec_lo, s4
	v_cmp_gt_u32_e64 s4, s6, v11
	s_delay_alu instid0(VALU_DEP_1)
	s_and_saveexec_b32 s5, s4
	s_cbranch_execnz .LBB13_44
.LBB13_29:                              ;   in Loop: Header=BB13_9 Depth=1
	s_or_b32 exec_lo, exec_lo, s5
	v_cmp_gt_u32_e64 s5, s6, v12
	s_delay_alu instid0(VALU_DEP_1)
	s_and_saveexec_b32 s10, s5
	s_cbranch_execnz .LBB13_45
.LBB13_30:                              ;   in Loop: Header=BB13_9 Depth=1
	s_or_b32 exec_lo, exec_lo, s10
	v_cmp_gt_u32_e64 s6, s6, v14
	s_delay_alu instid0(VALU_DEP_1)
	s_and_saveexec_b32 s10, s6
	s_cbranch_execnz .LBB13_46
.LBB13_31:                              ;   in Loop: Header=BB13_9 Depth=1
	s_or_b32 exec_lo, exec_lo, s10
	s_and_saveexec_b32 s10, vcc_lo
	s_cbranch_execnz .LBB13_47
.LBB13_32:                              ;   in Loop: Header=BB13_9 Depth=1
	s_or_b32 exec_lo, exec_lo, s10
	s_and_saveexec_b32 s10, s0
	s_cbranch_execnz .LBB13_48
.LBB13_33:                              ;   in Loop: Header=BB13_9 Depth=1
	s_or_b32 exec_lo, exec_lo, s10
	s_and_saveexec_b32 s0, s1
	s_cbranch_execnz .LBB13_49
.LBB13_34:                              ;   in Loop: Header=BB13_9 Depth=1
	s_or_b32 exec_lo, exec_lo, s0
	s_and_saveexec_b32 s0, s2
	s_cbranch_execnz .LBB13_50
.LBB13_35:                              ;   in Loop: Header=BB13_9 Depth=1
	s_or_b32 exec_lo, exec_lo, s0
	s_and_saveexec_b32 s0, s3
	s_cbranch_execnz .LBB13_51
.LBB13_36:                              ;   in Loop: Header=BB13_9 Depth=1
	s_or_b32 exec_lo, exec_lo, s0
	s_and_saveexec_b32 s0, s4
	s_cbranch_execnz .LBB13_52
.LBB13_37:                              ;   in Loop: Header=BB13_9 Depth=1
	s_or_b32 exec_lo, exec_lo, s0
	s_and_saveexec_b32 s0, s5
	s_cbranch_execnz .LBB13_53
.LBB13_38:                              ;   in Loop: Header=BB13_9 Depth=1
	s_or_b32 exec_lo, exec_lo, s0
	s_and_saveexec_b32 s0, s6
	s_cbranch_execz .LBB13_8
	s_branch .LBB13_54
.LBB13_39:                              ;   in Loop: Header=BB13_9 Depth=1
	global_store_b16 v[2:3], v24, off offset:-14
	s_or_b32 exec_lo, exec_lo, s0
	v_cmp_gt_u32_e64 s0, s6, v6
	s_delay_alu instid0(VALU_DEP_1)
	s_and_saveexec_b32 s1, s0
	s_cbranch_execz .LBB13_25
.LBB13_40:                              ;   in Loop: Header=BB13_9 Depth=1
	global_store_b16 v[2:3], v25, off offset:-12
	s_or_b32 exec_lo, exec_lo, s1
	v_cmp_gt_u32_e64 s1, s6, v7
	s_delay_alu instid0(VALU_DEP_1)
	s_and_saveexec_b32 s2, s1
	s_cbranch_execz .LBB13_26
.LBB13_41:                              ;   in Loop: Header=BB13_9 Depth=1
	global_store_b16 v[2:3], v27, off offset:-10
	s_or_b32 exec_lo, exec_lo, s2
	v_cmp_gt_u32_e64 s2, s6, v8
	s_delay_alu instid0(VALU_DEP_1)
	s_and_saveexec_b32 s3, s2
	s_cbranch_execz .LBB13_27
.LBB13_42:                              ;   in Loop: Header=BB13_9 Depth=1
	global_store_b16 v[2:3], v29, off offset:-8
	s_or_b32 exec_lo, exec_lo, s3
	v_cmp_gt_u32_e64 s3, s6, v9
	s_delay_alu instid0(VALU_DEP_1)
	s_and_saveexec_b32 s4, s3
	s_cbranch_execz .LBB13_28
.LBB13_43:                              ;   in Loop: Header=BB13_9 Depth=1
	global_store_b16 v[2:3], v31, off offset:-6
	s_or_b32 exec_lo, exec_lo, s4
	v_cmp_gt_u32_e64 s4, s6, v11
	s_delay_alu instid0(VALU_DEP_1)
	s_and_saveexec_b32 s5, s4
	s_cbranch_execz .LBB13_29
.LBB13_44:                              ;   in Loop: Header=BB13_9 Depth=1
	global_store_b16 v[2:3], v32, off offset:-4
	s_or_b32 exec_lo, exec_lo, s5
	v_cmp_gt_u32_e64 s5, s6, v12
	s_delay_alu instid0(VALU_DEP_1)
	s_and_saveexec_b32 s10, s5
	s_cbranch_execz .LBB13_30
.LBB13_45:                              ;   in Loop: Header=BB13_9 Depth=1
	global_store_b16 v[2:3], v33, off offset:-2
	s_or_b32 exec_lo, exec_lo, s10
	v_cmp_gt_u32_e64 s6, s6, v14
	s_delay_alu instid0(VALU_DEP_1)
	s_and_saveexec_b32 s10, s6
	s_cbranch_execz .LBB13_31
.LBB13_46:                              ;   in Loop: Header=BB13_9 Depth=1
	s_waitcnt lgkmcnt(0)
	global_store_b16 v[2:3], v5, off
	s_or_b32 exec_lo, exec_lo, s10
	s_and_saveexec_b32 s10, vcc_lo
	s_cbranch_execz .LBB13_32
.LBB13_47:                              ;   in Loop: Header=BB13_9 Depth=1
	global_store_b32 v[0:1], v18, off offset:-28
	s_or_b32 exec_lo, exec_lo, s10
	s_and_saveexec_b32 s10, s0
	s_cbranch_execz .LBB13_33
.LBB13_48:                              ;   in Loop: Header=BB13_9 Depth=1
	s_waitcnt lgkmcnt(0)
	v_add_nc_u32_e32 v5, 1, v20
	global_store_b32 v[0:1], v5, off offset:-24
	s_or_b32 exec_lo, exec_lo, s10
	s_and_saveexec_b32 s0, s1
	s_cbranch_execz .LBB13_34
.LBB13_49:                              ;   in Loop: Header=BB13_9 Depth=1
	s_waitcnt lgkmcnt(0)
	v_add_nc_u32_e32 v5, 2, v21
	global_store_b32 v[0:1], v5, off offset:-20
	s_or_b32 exec_lo, exec_lo, s0
	s_and_saveexec_b32 s0, s2
	s_cbranch_execz .LBB13_35
.LBB13_50:                              ;   in Loop: Header=BB13_9 Depth=1
	s_waitcnt lgkmcnt(0)
	v_add_nc_u32_e32 v5, 3, v22
	global_store_b32 v[0:1], v5, off offset:-16
	s_or_b32 exec_lo, exec_lo, s0
	s_and_saveexec_b32 s0, s3
	s_cbranch_execz .LBB13_36
.LBB13_51:                              ;   in Loop: Header=BB13_9 Depth=1
	s_waitcnt lgkmcnt(0)
	v_add_nc_u32_e32 v5, 4, v23
	global_store_b32 v[0:1], v5, off offset:-12
	s_or_b32 exec_lo, exec_lo, s0
	s_and_saveexec_b32 s0, s4
	s_cbranch_execz .LBB13_37
.LBB13_52:                              ;   in Loop: Header=BB13_9 Depth=1
	s_waitcnt lgkmcnt(0)
	v_add_nc_u32_e32 v5, 5, v26
	global_store_b32 v[0:1], v5, off offset:-8
	s_or_b32 exec_lo, exec_lo, s0
	s_and_saveexec_b32 s0, s5
	s_cbranch_execz .LBB13_38
.LBB13_53:                              ;   in Loop: Header=BB13_9 Depth=1
	v_add_nc_u32_e32 v4, 6, v4
	global_store_b32 v[0:1], v4, off offset:-4
	s_or_b32 exec_lo, exec_lo, s0
	s_and_saveexec_b32 s0, s6
	s_cbranch_execz .LBB13_8
.LBB13_54:                              ;   in Loop: Header=BB13_9 Depth=1
	v_add_nc_u32_e32 v4, 7, v30
	global_store_b32 v[0:1], v4, off
	s_branch .LBB13_8
.LBB13_55:
	s_nop 0
	s_sendmsg sendmsg(MSG_DEALLOC_VGPRS)
	s_endpgm
	.section	.rodata,"a",@progbits
	.p2align	6, 0x0
	.amdhsa_kernel _Z30block_run_length_decode_kernelI6__halfiLj256ELj8ELj8EEvPKT_PKT0_PS1_PS4_
		.amdhsa_group_segment_fixed_size 12288
		.amdhsa_private_segment_fixed_size 0
		.amdhsa_kernarg_size 32
		.amdhsa_user_sgpr_count 15
		.amdhsa_user_sgpr_dispatch_ptr 0
		.amdhsa_user_sgpr_queue_ptr 0
		.amdhsa_user_sgpr_kernarg_segment_ptr 1
		.amdhsa_user_sgpr_dispatch_id 0
		.amdhsa_user_sgpr_private_segment_size 0
		.amdhsa_wavefront_size32 1
		.amdhsa_uses_dynamic_stack 0
		.amdhsa_enable_private_segment 0
		.amdhsa_system_sgpr_workgroup_id_x 1
		.amdhsa_system_sgpr_workgroup_id_y 0
		.amdhsa_system_sgpr_workgroup_id_z 0
		.amdhsa_system_sgpr_workgroup_info 0
		.amdhsa_system_vgpr_workitem_id 0
		.amdhsa_next_free_vgpr 35
		.amdhsa_next_free_sgpr 16
		.amdhsa_reserve_vcc 1
		.amdhsa_float_round_mode_32 0
		.amdhsa_float_round_mode_16_64 0
		.amdhsa_float_denorm_mode_32 3
		.amdhsa_float_denorm_mode_16_64 3
		.amdhsa_dx10_clamp 1
		.amdhsa_ieee_mode 1
		.amdhsa_fp16_overflow 0
		.amdhsa_workgroup_processor_mode 1
		.amdhsa_memory_ordered 1
		.amdhsa_forward_progress 0
		.amdhsa_shared_vgpr_count 0
		.amdhsa_exception_fp_ieee_invalid_op 0
		.amdhsa_exception_fp_denorm_src 0
		.amdhsa_exception_fp_ieee_div_zero 0
		.amdhsa_exception_fp_ieee_overflow 0
		.amdhsa_exception_fp_ieee_underflow 0
		.amdhsa_exception_fp_ieee_inexact 0
		.amdhsa_exception_int_div_zero 0
	.end_amdhsa_kernel
	.section	.text._Z30block_run_length_decode_kernelI6__halfiLj256ELj8ELj8EEvPKT_PKT0_PS1_PS4_,"axG",@progbits,_Z30block_run_length_decode_kernelI6__halfiLj256ELj8ELj8EEvPKT_PKT0_PS1_PS4_,comdat
.Lfunc_end13:
	.size	_Z30block_run_length_decode_kernelI6__halfiLj256ELj8ELj8EEvPKT_PKT0_PS1_PS4_, .Lfunc_end13-_Z30block_run_length_decode_kernelI6__halfiLj256ELj8ELj8EEvPKT_PKT0_PS1_PS4_
                                        ; -- End function
	.section	.AMDGPU.csdata,"",@progbits
; Kernel info:
; codeLenInByte = 3308
; NumSgprs: 18
; NumVgprs: 35
; ScratchSize: 0
; MemoryBound: 0
; FloatMode: 240
; IeeeMode: 1
; LDSByteSize: 12288 bytes/workgroup (compile time only)
; SGPRBlocks: 2
; VGPRBlocks: 4
; NumSGPRsForWavesPerEU: 18
; NumVGPRsForWavesPerEU: 35
; Occupancy: 16
; WaveLimiterHint : 0
; COMPUTE_PGM_RSRC2:SCRATCH_EN: 0
; COMPUTE_PGM_RSRC2:USER_SGPR: 15
; COMPUTE_PGM_RSRC2:TRAP_HANDLER: 0
; COMPUTE_PGM_RSRC2:TGID_X_EN: 1
; COMPUTE_PGM_RSRC2:TGID_Y_EN: 0
; COMPUTE_PGM_RSRC2:TGID_Z_EN: 0
; COMPUTE_PGM_RSRC2:TIDIG_COMP_CNT: 0
	.section	.text._Z30block_run_length_decode_kernelIfiLj256ELj8ELj8EEvPKT_PKT0_PS0_PS3_,"axG",@progbits,_Z30block_run_length_decode_kernelIfiLj256ELj8ELj8EEvPKT_PKT0_PS0_PS3_,comdat
	.protected	_Z30block_run_length_decode_kernelIfiLj256ELj8ELj8EEvPKT_PKT0_PS0_PS3_ ; -- Begin function _Z30block_run_length_decode_kernelIfiLj256ELj8ELj8EEvPKT_PKT0_PS0_PS3_
	.globl	_Z30block_run_length_decode_kernelIfiLj256ELj8ELj8EEvPKT_PKT0_PS0_PS3_
	.p2align	8
	.type	_Z30block_run_length_decode_kernelIfiLj256ELj8ELj8EEvPKT_PKT0_PS0_PS3_,@function
_Z30block_run_length_decode_kernelIfiLj256ELj8ELj8EEvPKT_PKT0_PS0_PS3_: ; @_Z30block_run_length_decode_kernelIfiLj256ELj8ELj8EEvPKT_PKT0_PS0_PS3_
; %bb.0:
	s_load_b256 s[4:11], s[0:1], 0x0
	v_lshlrev_b32_e32 v20, 3, v0
	v_mov_b32_e32 v18, 0
	v_or_b32_e32 v24, 31, v0
	s_mov_b32 s0, exec_lo
	s_delay_alu instid0(VALU_DEP_3) | instskip(NEXT) | instid1(VALU_DEP_1)
	v_lshl_or_b32 v17, s15, 11, v20
	v_lshlrev_b64 v[18:19], 2, v[17:18]
	s_waitcnt lgkmcnt(0)
	s_delay_alu instid0(VALU_DEP_1) | instskip(NEXT) | instid1(VALU_DEP_2)
	v_add_co_u32 v1, vcc_lo, s6, v18
	v_add_co_ci_u32_e32 v2, vcc_lo, s7, v19, vcc_lo
	v_add_co_u32 v9, vcc_lo, s4, v18
	v_add_co_ci_u32_e32 v10, vcc_lo, s5, v19, vcc_lo
	s_clause 0x1
	global_load_b128 v[13:16], v[1:2], off
	global_load_b128 v[1:4], v[1:2], off offset:16
	s_clause 0x1
	global_load_b128 v[5:8], v[9:10], off offset:16
	global_load_b128 v[9:12], v[9:10], off
	s_waitcnt vmcnt(3)
	v_add_nc_u32_e32 v21, v14, v13
	s_delay_alu instid0(VALU_DEP_1) | instskip(SKIP_1) | instid1(VALU_DEP_1)
	v_add3_u32 v21, v21, v15, v16
	s_waitcnt vmcnt(2)
	v_add3_u32 v22, v21, v1, v2
	v_mbcnt_lo_u32_b32 v21, -1, 0
	s_delay_alu instid0(VALU_DEP_2) | instskip(NEXT) | instid1(VALU_DEP_2)
	v_add3_u32 v4, v22, v3, v4
	v_and_b32_e32 v22, 15, v21
	s_delay_alu instid0(VALU_DEP_2) | instskip(NEXT) | instid1(VALU_DEP_2)
	v_mov_b32_dpp v23, v4 row_shr:1 row_mask:0xf bank_mask:0xf
	v_cmp_ne_u32_e32 vcc_lo, 0, v22
	s_delay_alu instid0(VALU_DEP_2) | instskip(SKIP_1) | instid1(VALU_DEP_2)
	v_cndmask_b32_e32 v23, 0, v23, vcc_lo
	v_cmp_lt_u32_e32 vcc_lo, 1, v22
	v_add_nc_u32_e32 v4, v23, v4
	s_delay_alu instid0(VALU_DEP_1) | instskip(NEXT) | instid1(VALU_DEP_1)
	v_mov_b32_dpp v23, v4 row_shr:2 row_mask:0xf bank_mask:0xf
	v_cndmask_b32_e32 v23, 0, v23, vcc_lo
	v_cmp_lt_u32_e32 vcc_lo, 3, v22
	s_delay_alu instid0(VALU_DEP_2) | instskip(NEXT) | instid1(VALU_DEP_1)
	v_add_nc_u32_e32 v4, v4, v23
	v_mov_b32_dpp v23, v4 row_shr:4 row_mask:0xf bank_mask:0xf
	s_delay_alu instid0(VALU_DEP_1) | instskip(SKIP_1) | instid1(VALU_DEP_2)
	v_cndmask_b32_e32 v23, 0, v23, vcc_lo
	v_cmp_lt_u32_e32 vcc_lo, 7, v22
	v_add_nc_u32_e32 v4, v4, v23
	s_delay_alu instid0(VALU_DEP_1) | instskip(NEXT) | instid1(VALU_DEP_1)
	v_mov_b32_dpp v23, v4 row_shr:8 row_mask:0xf bank_mask:0xf
	v_cndmask_b32_e32 v22, 0, v23, vcc_lo
	v_bfe_i32 v23, v21, 4, 1
	s_delay_alu instid0(VALU_DEP_2) | instskip(SKIP_4) | instid1(VALU_DEP_2)
	v_add_nc_u32_e32 v4, v4, v22
	ds_swizzle_b32 v22, v4 offset:swizzle(BROADCAST,32,15)
	s_waitcnt lgkmcnt(0)
	v_and_b32_e32 v23, v23, v22
	v_lshrrev_b32_e32 v22, 5, v0
	v_add_nc_u32_e32 v4, v4, v23
	v_cmpx_eq_u32_e64 v24, v0
	s_cbranch_execz .LBB14_2
; %bb.1:
	s_delay_alu instid0(VALU_DEP_3)
	v_lshlrev_b32_e32 v23, 2, v22
	ds_store_b32 v23, v4
.LBB14_2:
	s_or_b32 exec_lo, exec_lo, s0
	s_delay_alu instid0(SALU_CYCLE_1)
	s_mov_b32 s0, exec_lo
	s_waitcnt vmcnt(0) lgkmcnt(0)
	s_barrier
	buffer_gl0_inv
	v_cmpx_gt_u32_e32 8, v0
	s_cbranch_execz .LBB14_4
; %bb.3:
	v_and_b32_e32 v25, 7, v21
	s_delay_alu instid0(VALU_DEP_1) | instskip(SKIP_4) | instid1(VALU_DEP_1)
	v_cmp_ne_u32_e32 vcc_lo, 0, v25
	v_lshlrev_b32_e32 v23, 2, v0
	ds_load_b32 v24, v23
	s_waitcnt lgkmcnt(0)
	v_mov_b32_dpp v26, v24 row_shr:1 row_mask:0xf bank_mask:0xf
	v_cndmask_b32_e32 v26, 0, v26, vcc_lo
	v_cmp_lt_u32_e32 vcc_lo, 1, v25
	s_delay_alu instid0(VALU_DEP_2) | instskip(NEXT) | instid1(VALU_DEP_1)
	v_add_nc_u32_e32 v24, v26, v24
	v_mov_b32_dpp v26, v24 row_shr:2 row_mask:0xf bank_mask:0xf
	s_delay_alu instid0(VALU_DEP_1) | instskip(SKIP_1) | instid1(VALU_DEP_2)
	v_cndmask_b32_e32 v26, 0, v26, vcc_lo
	v_cmp_lt_u32_e32 vcc_lo, 3, v25
	v_add_nc_u32_e32 v24, v24, v26
	s_delay_alu instid0(VALU_DEP_1) | instskip(NEXT) | instid1(VALU_DEP_1)
	v_mov_b32_dpp v26, v24 row_shr:4 row_mask:0xf bank_mask:0xf
	v_cndmask_b32_e32 v25, 0, v26, vcc_lo
	s_delay_alu instid0(VALU_DEP_1)
	v_add_nc_u32_e32 v24, v24, v25
	ds_store_b32 v23, v24
.LBB14_4:
	s_or_b32 exec_lo, exec_lo, s0
	v_dual_mov_b32 v23, 0 :: v_dual_mov_b32 v24, 0
	s_mov_b32 s0, exec_lo
	s_waitcnt lgkmcnt(0)
	s_barrier
	buffer_gl0_inv
	v_cmpx_lt_u32_e32 31, v0
	s_cbranch_execz .LBB14_6
; %bb.5:
	v_lshl_add_u32 v22, v22, 2, -4
	ds_load_b32 v24, v22
.LBB14_6:
	s_or_b32 exec_lo, exec_lo, s0
	v_add_nc_u32_e32 v22, -1, v21
	s_waitcnt lgkmcnt(0)
	v_add_nc_u32_e32 v4, v24, v4
	s_mov_b32 s12, 0
	s_delay_alu instid0(VALU_DEP_2) | instskip(SKIP_3) | instid1(VALU_DEP_3)
	v_cmp_gt_i32_e32 vcc_lo, 0, v22
	v_cndmask_b32_e32 v22, v22, v21, vcc_lo
	v_cmp_eq_u32_e32 vcc_lo, 0, v21
	v_lshlrev_b32_e32 v21, 2, v20
	v_lshlrev_b32_e32 v22, 2, v22
	s_delay_alu instid0(VALU_DEP_2)
	v_add_nc_u32_e32 v25, 0x2018, v21
	ds_bpermute_b32 v4, v22, v4
	v_or_b32_e32 v22, 0x2000, v21
	s_waitcnt lgkmcnt(0)
	v_cndmask_b32_e32 v4, v4, v24, vcc_lo
	v_cmp_ne_u32_e32 vcc_lo, 0, v0
	v_add_nc_u32_e32 v24, 0x2010, v21
	s_delay_alu instid0(VALU_DEP_3) | instskip(NEXT) | instid1(VALU_DEP_1)
	v_cndmask_b32_e32 v0, 0, v4, vcc_lo
	v_add_nc_u32_e32 v4, v0, v13
	ds_load_b32 v13, v23 offset:28
	v_add_nc_u32_e32 v23, 0x2008, v21
	s_waitcnt lgkmcnt(0)
	s_barrier
	v_add_nc_u32_e32 v14, v4, v14
	buffer_gl0_inv
	ds_store_2addr_b32 v21, v9, v10 offset1:1
	ds_store_2addr_b32 v21, v11, v12 offset0:2 offset1:3
	ds_store_2addr_b32 v21, v5, v6 offset0:4 offset1:5
	;; [unrolled: 1-line block ×3, first 2 shown]
	v_add_nc_u32_e32 v15, v14, v15
	s_delay_alu instid0(VALU_DEP_1) | instskip(NEXT) | instid1(VALU_DEP_1)
	v_add_nc_u32_e32 v16, v15, v16
	v_add_nc_u32_e32 v1, v16, v1
	v_cmp_eq_u32_e32 vcc_lo, 0, v13
	v_readfirstlane_b32 s13, v13
	s_delay_alu instid0(VALU_DEP_3) | instskip(SKIP_1) | instid1(VALU_DEP_1)
	v_add_nc_u32_e32 v2, v1, v2
	s_and_b32 vcc_lo, exec_lo, vcc_lo
	v_add_nc_u32_e32 v3, v2, v3
	ds_store_2addr_b32 v22, v0, v4 offset1:1
	ds_store_2addr_b32 v23, v14, v15 offset1:1
	;; [unrolled: 1-line block ×4, first 2 shown]
	s_waitcnt lgkmcnt(0)
	s_barrier
	buffer_gl0_inv
	s_cbranch_vccnz .LBB14_55
; %bb.7:
	v_dual_mov_b32 v0, 0 :: v_dual_mov_b32 v11, 0x400
	v_or_b32_e32 v4, 1, v17
	v_or_b32_e32 v5, 2, v17
	;; [unrolled: 1-line block ×3, first 2 shown]
	ds_load_b32 v3, v0 offset:12288
	v_or_b32_e32 v7, 4, v17
	v_or_b32_e32 v8, 5, v17
	;; [unrolled: 1-line block ×4, first 2 shown]
	v_mov_b32_e32 v12, 0x200
	s_mov_b32 s14, s13
	s_branch .LBB14_9
.LBB14_8:                               ;   in Loop: Header=BB14_9 Depth=1
	s_or_b32 exec_lo, exec_lo, s0
	s_addk_i32 s12, 0x800
	s_addk_i32 s14, 0xf800
	s_add_u32 s10, s10, 0x2000
	s_addc_u32 s11, s11, 0
	s_add_u32 s8, s8, 0x2000
	s_addc_u32 s9, s9, 0
	s_cmp_lt_u32 s12, s13
	s_cbranch_scc0 .LBB14_55
.LBB14_9:                               ; =>This Inner Loop Header: Depth=1
	v_add_nc_u32_e32 v2, s12, v20
	s_waitcnt lgkmcnt(0)
	s_delay_alu instid0(VALU_DEP_1) | instskip(SKIP_2) | instid1(VALU_DEP_2)
	v_cmp_gt_u32_e32 vcc_lo, v3, v2
	v_cndmask_b32_e32 v1, 0x600, v12, vcc_lo
	v_cndmask_b32_e64 v0, 0x401, 0, vcc_lo
	v_dual_cndmask_b32 v14, 0x800, v11 :: v_dual_lshlrev_b32 v13, 2, v1
	v_or_b32_e32 v15, 1, v1
	ds_load_b32 v13, v13 offset:8192
	s_waitcnt lgkmcnt(0)
	v_cmp_gt_u32_e32 vcc_lo, v13, v2
	v_dual_cndmask_b32 v0, v15, v0 :: v_dual_cndmask_b32 v1, v14, v1
	s_delay_alu instid0(VALU_DEP_1) | instskip(NEXT) | instid1(VALU_DEP_1)
	v_sub_nc_u32_e32 v13, v1, v0
	v_lshrrev_b16 v14, 15, v13
	s_delay_alu instid0(VALU_DEP_1) | instskip(NEXT) | instid1(VALU_DEP_1)
	v_add_nc_u16 v13, v13, v14
	v_ashrrev_i16 v13, 1, v13
	s_delay_alu instid0(VALU_DEP_1) | instskip(NEXT) | instid1(VALU_DEP_1)
	v_bfe_i32 v13, v13, 0, 16
	v_add_nc_u32_e32 v13, v0, v13
	s_delay_alu instid0(VALU_DEP_1) | instskip(NEXT) | instid1(VALU_DEP_1)
	v_min_i32_e32 v13, 0x7ff, v13
	v_lshlrev_b32_e32 v14, 2, v13
	v_add_nc_u32_e32 v15, 1, v13
	ds_load_b32 v14, v14 offset:8192
	s_waitcnt lgkmcnt(0)
	v_cmp_gt_u32_e32 vcc_lo, v14, v2
	v_dual_cndmask_b32 v0, v15, v0 :: v_dual_cndmask_b32 v1, v1, v13
	s_delay_alu instid0(VALU_DEP_1) | instskip(NEXT) | instid1(VALU_DEP_1)
	v_sub_nc_u32_e32 v13, v1, v0
	v_lshrrev_b16 v14, 15, v13
	s_delay_alu instid0(VALU_DEP_1) | instskip(NEXT) | instid1(VALU_DEP_1)
	v_add_nc_u16 v13, v13, v14
	v_ashrrev_i16 v13, 1, v13
	s_delay_alu instid0(VALU_DEP_1) | instskip(NEXT) | instid1(VALU_DEP_1)
	v_bfe_i32 v13, v13, 0, 16
	v_add_nc_u32_e32 v13, v0, v13
	s_delay_alu instid0(VALU_DEP_1) | instskip(NEXT) | instid1(VALU_DEP_1)
	v_min_i32_e32 v13, 0x7ff, v13
	v_lshlrev_b32_e32 v14, 2, v13
	v_add_nc_u32_e32 v15, 1, v13
	;; [unrolled: 17-line block ×8, first 2 shown]
	ds_load_b32 v14, v14 offset:8192
	s_waitcnt lgkmcnt(0)
	v_cmp_gt_u32_e32 vcc_lo, v14, v2
	v_dual_cndmask_b32 v0, v15, v0 :: v_dual_cndmask_b32 v1, v1, v13
	s_delay_alu instid0(VALU_DEP_1) | instskip(NEXT) | instid1(VALU_DEP_1)
	v_sub_nc_u32_e32 v13, v1, v0
	v_lshrrev_b32_e32 v14, 31, v13
	s_delay_alu instid0(VALU_DEP_1) | instskip(NEXT) | instid1(VALU_DEP_1)
	v_add_nc_u32_e32 v13, v13, v14
	v_ashrrev_i32_e32 v13, 1, v13
	s_delay_alu instid0(VALU_DEP_1) | instskip(NEXT) | instid1(VALU_DEP_1)
	v_add_nc_u32_e32 v13, v13, v0
	v_min_i32_e32 v13, 0x7ff, v13
	s_delay_alu instid0(VALU_DEP_1)
	v_lshlrev_b32_e32 v14, 2, v13
	v_add_nc_u32_e32 v15, 1, v13
	ds_load_b32 v14, v14 offset:8192
	s_waitcnt lgkmcnt(0)
	v_cmp_gt_u32_e32 vcc_lo, v14, v2
	v_dual_cndmask_b32 v0, v15, v0 :: v_dual_cndmask_b32 v1, v1, v13
	s_delay_alu instid0(VALU_DEP_1) | instskip(NEXT) | instid1(VALU_DEP_1)
	v_sub_nc_u32_e32 v1, v1, v0
	v_lshrrev_b32_e32 v13, 31, v1
	s_delay_alu instid0(VALU_DEP_1) | instskip(NEXT) | instid1(VALU_DEP_1)
	v_add_nc_u32_e32 v1, v1, v13
	v_ashrrev_i32_e32 v1, 1, v1
	s_delay_alu instid0(VALU_DEP_1) | instskip(NEXT) | instid1(VALU_DEP_1)
	v_add_nc_u32_e32 v1, v1, v0
	v_min_i32_e32 v1, 0x7ff, v1
	s_delay_alu instid0(VALU_DEP_1)
	v_lshlrev_b32_e32 v13, 2, v1
	v_add_nc_u32_e32 v1, 1, v1
	ds_load_b32 v13, v13 offset:8192
	s_waitcnt lgkmcnt(0)
	v_cmp_gt_u32_e32 vcc_lo, v13, v2
	v_cndmask_b32_e32 v25, v1, v0, vcc_lo
	s_delay_alu instid0(VALU_DEP_1) | instskip(NEXT) | instid1(VALU_DEP_1)
	v_lshlrev_b32_e32 v15, 2, v25
	v_add_nc_u32_e32 v0, 0x1ffc, v15
	v_add_nc_u32_e32 v13, -4, v15
	ds_load_2addr_b32 v[0:1], v0 offset1:1
	ds_load_b32 v22, v13
	v_add_nc_u32_e32 v13, 1, v2
	s_waitcnt lgkmcnt(1)
	v_sub_nc_u32_e32 v14, v2, v0
	s_delay_alu instid0(VALU_DEP_2) | instskip(SKIP_2) | instid1(VALU_DEP_3)
	v_cmp_eq_u32_e32 vcc_lo, v13, v1
	s_waitcnt lgkmcnt(0)
	v_mov_b32_e32 v23, v22
	v_mov_b32_e32 v13, v14
	s_and_saveexec_b32 s0, vcc_lo
	s_cbranch_execz .LBB14_11
; %bb.10:                               ;   in Loop: Header=BB14_9 Depth=1
	ds_load_b32 v0, v15 offset:8196
	ds_load_b32 v23, v15
	v_add_nc_u32_e32 v25, 1, v25
	v_sub_nc_u32_e32 v13, v2, v1
	s_waitcnt lgkmcnt(1)
	v_mov_b32_e32 v1, v0
.LBB14_11:                              ;   in Loop: Header=BB14_9 Depth=1
	s_or_b32 exec_lo, exec_lo, s0
	s_delay_alu instid0(VALU_DEP_1) | instskip(SKIP_3) | instid1(VALU_DEP_2)
	v_dual_mov_b32 v15, v13 :: v_dual_add_nc_u32 v0, 2, v2
	s_waitcnt lgkmcnt(0)
	v_mov_b32_e32 v26, v23
	s_mov_b32 s0, exec_lo
	v_cmpx_eq_u32_e64 v0, v1
	s_cbranch_execz .LBB14_13
; %bb.12:                               ;   in Loop: Header=BB14_9 Depth=1
	v_lshlrev_b32_e32 v0, 2, v25
	v_add_nc_u32_e32 v25, 1, v25
	v_sub_nc_u32_e32 v15, v2, v1
	ds_load_b32 v16, v0 offset:8196
	ds_load_b32 v26, v0
	s_waitcnt lgkmcnt(1)
	v_mov_b32_e32 v1, v16
.LBB14_13:                              ;   in Loop: Header=BB14_9 Depth=1
	s_or_b32 exec_lo, exec_lo, s0
	v_add_nc_u32_e32 v0, 3, v2
	v_mov_b32_e32 v16, v15
	s_waitcnt lgkmcnt(0)
	v_mov_b32_e32 v28, v26
	s_mov_b32 s0, exec_lo
	v_cmpx_eq_u32_e64 v0, v1
	s_cbranch_execz .LBB14_15
; %bb.14:                               ;   in Loop: Header=BB14_9 Depth=1
	v_lshlrev_b32_e32 v16, 2, v25
	v_add_nc_u32_e32 v25, 1, v25
	s_delay_alu instid0(VALU_DEP_2)
	v_add_nc_u32_e32 v0, 0x2000, v16
	ds_load_2addr_b32 v[0:1], v0 offset1:1
	ds_load_b32 v28, v16
	s_waitcnt lgkmcnt(1)
	v_sub_nc_u32_e32 v16, v2, v0
.LBB14_15:                              ;   in Loop: Header=BB14_9 Depth=1
	s_or_b32 exec_lo, exec_lo, s0
	s_delay_alu instid0(VALU_DEP_1) | instskip(SKIP_3) | instid1(VALU_DEP_2)
	v_dual_mov_b32 v21, v16 :: v_dual_add_nc_u32 v0, 4, v2
	s_waitcnt lgkmcnt(0)
	v_mov_b32_e32 v30, v28
	s_mov_b32 s0, exec_lo
	v_cmpx_eq_u32_e64 v0, v1
	s_cbranch_execz .LBB14_17
; %bb.16:                               ;   in Loop: Header=BB14_9 Depth=1
	v_lshlrev_b32_e32 v21, 2, v25
	v_add_nc_u32_e32 v25, 1, v25
	s_delay_alu instid0(VALU_DEP_2)
	v_add_nc_u32_e32 v0, 0x2000, v21
	ds_load_2addr_b32 v[0:1], v0 offset1:1
	ds_load_b32 v30, v21
	s_waitcnt lgkmcnt(1)
	v_sub_nc_u32_e32 v21, v2, v0
.LBB14_17:                              ;   in Loop: Header=BB14_9 Depth=1
	s_or_b32 exec_lo, exec_lo, s0
	s_waitcnt lgkmcnt(0)
	v_dual_mov_b32 v31, v30 :: v_dual_add_nc_u32 v0, 5, v2
	s_delay_alu instid0(VALU_DEP_2) | instskip(SKIP_1) | instid1(VALU_DEP_2)
	v_mov_b32_e32 v24, v21
	s_mov_b32 s0, exec_lo
	v_cmpx_eq_u32_e64 v0, v1
	s_cbranch_execz .LBB14_19
; %bb.18:                               ;   in Loop: Header=BB14_9 Depth=1
	v_lshlrev_b32_e32 v24, 2, v25
	v_add_nc_u32_e32 v25, 1, v25
	s_delay_alu instid0(VALU_DEP_2)
	v_add_nc_u32_e32 v0, 0x2000, v24
	ds_load_2addr_b32 v[0:1], v0 offset1:1
	ds_load_b32 v31, v24
	s_waitcnt lgkmcnt(1)
	v_sub_nc_u32_e32 v24, v2, v0
.LBB14_19:                              ;   in Loop: Header=BB14_9 Depth=1
	s_or_b32 exec_lo, exec_lo, s0
	s_delay_alu instid0(VALU_DEP_1) | instskip(SKIP_3) | instid1(VALU_DEP_2)
	v_dual_mov_b32 v27, v24 :: v_dual_add_nc_u32 v0, 6, v2
	s_waitcnt lgkmcnt(0)
	v_mov_b32_e32 v32, v31
	s_mov_b32 s0, exec_lo
	v_cmpx_eq_u32_e64 v0, v1
	s_cbranch_execz .LBB14_21
; %bb.20:                               ;   in Loop: Header=BB14_9 Depth=1
	v_lshlrev_b32_e32 v27, 2, v25
	v_add_nc_u32_e32 v25, 1, v25
	s_delay_alu instid0(VALU_DEP_2)
	v_add_nc_u32_e32 v0, 0x2000, v27
	ds_load_2addr_b32 v[0:1], v0 offset1:1
	ds_load_b32 v32, v27
	s_waitcnt lgkmcnt(1)
	v_sub_nc_u32_e32 v27, v2, v0
.LBB14_21:                              ;   in Loop: Header=BB14_9 Depth=1
	s_or_b32 exec_lo, exec_lo, s0
	s_delay_alu instid0(VALU_DEP_1) | instskip(NEXT) | instid1(VALU_DEP_1)
	v_dual_mov_b32 v29, v27 :: v_dual_add_nc_u32 v0, 7, v2
	v_cmp_eq_u32_e32 vcc_lo, v0, v1
	s_waitcnt lgkmcnt(0)
	v_mov_b32_e32 v0, v32
	s_and_saveexec_b32 s0, vcc_lo
	s_cbranch_execz .LBB14_23
; %bb.22:                               ;   in Loop: Header=BB14_9 Depth=1
	v_lshlrev_b32_e32 v0, 2, v25
	ds_load_2addr_stride64_b32 v[0:1], v0 offset1:32
	s_waitcnt lgkmcnt(0)
	v_sub_nc_u32_e32 v29, v2, v1
.LBB14_23:                              ;   in Loop: Header=BB14_9 Depth=1
	s_or_b32 exec_lo, exec_lo, s0
	v_add_co_u32 v1, vcc_lo, s8, v18
	s_min_u32 s6, s14, 0x800
	v_add_co_ci_u32_e32 v2, vcc_lo, s9, v19, vcc_lo
	v_cmp_gt_u32_e32 vcc_lo, s6, v17
	s_and_saveexec_b32 s0, vcc_lo
	s_cbranch_execnz .LBB14_40
; %bb.24:                               ;   in Loop: Header=BB14_9 Depth=1
	s_or_b32 exec_lo, exec_lo, s0
	v_cmp_gt_u32_e64 s0, s6, v4
	s_delay_alu instid0(VALU_DEP_1)
	s_and_saveexec_b32 s1, s0
	s_cbranch_execnz .LBB14_41
.LBB14_25:                              ;   in Loop: Header=BB14_9 Depth=1
	s_or_b32 exec_lo, exec_lo, s1
	v_cmp_gt_u32_e64 s1, s6, v5
	s_delay_alu instid0(VALU_DEP_1)
	s_and_saveexec_b32 s2, s1
	s_cbranch_execnz .LBB14_42
.LBB14_26:                              ;   in Loop: Header=BB14_9 Depth=1
	s_or_b32 exec_lo, exec_lo, s2
	v_cmp_gt_u32_e64 s2, s6, v6
	s_delay_alu instid0(VALU_DEP_1)
	s_and_saveexec_b32 s3, s2
	s_cbranch_execnz .LBB14_43
.LBB14_27:                              ;   in Loop: Header=BB14_9 Depth=1
	s_or_b32 exec_lo, exec_lo, s3
	v_cmp_gt_u32_e64 s3, s6, v7
	s_delay_alu instid0(VALU_DEP_1)
	s_and_saveexec_b32 s4, s3
	s_cbranch_execnz .LBB14_44
.LBB14_28:                              ;   in Loop: Header=BB14_9 Depth=1
	s_or_b32 exec_lo, exec_lo, s4
	v_cmp_gt_u32_e64 s4, s6, v8
	s_delay_alu instid0(VALU_DEP_1)
	s_and_saveexec_b32 s5, s4
	s_cbranch_execnz .LBB14_45
.LBB14_29:                              ;   in Loop: Header=BB14_9 Depth=1
	s_or_b32 exec_lo, exec_lo, s5
	v_cmp_gt_u32_e64 s5, s6, v9
	s_delay_alu instid0(VALU_DEP_1)
	s_and_saveexec_b32 s7, s5
	s_cbranch_execnz .LBB14_46
.LBB14_30:                              ;   in Loop: Header=BB14_9 Depth=1
	s_or_b32 exec_lo, exec_lo, s7
	v_cmp_gt_u32_e64 s6, s6, v10
	s_delay_alu instid0(VALU_DEP_1)
	s_and_saveexec_b32 s7, s6
	s_cbranch_execz .LBB14_32
.LBB14_31:                              ;   in Loop: Header=BB14_9 Depth=1
	global_store_b32 v[1:2], v0, off offset:28
.LBB14_32:                              ;   in Loop: Header=BB14_9 Depth=1
	s_or_b32 exec_lo, exec_lo, s7
	v_add_co_u32 v0, s7, s10, v18
	s_delay_alu instid0(VALU_DEP_1)
	v_add_co_ci_u32_e64 v1, s7, s11, v19, s7
	s_and_saveexec_b32 s7, vcc_lo
	s_cbranch_execnz .LBB14_47
; %bb.33:                               ;   in Loop: Header=BB14_9 Depth=1
	s_or_b32 exec_lo, exec_lo, s7
	s_and_saveexec_b32 s7, s0
	s_cbranch_execnz .LBB14_48
.LBB14_34:                              ;   in Loop: Header=BB14_9 Depth=1
	s_or_b32 exec_lo, exec_lo, s7
	s_and_saveexec_b32 s0, s1
	s_cbranch_execnz .LBB14_49
.LBB14_35:                              ;   in Loop: Header=BB14_9 Depth=1
	s_or_b32 exec_lo, exec_lo, s0
	s_and_saveexec_b32 s0, s2
	s_cbranch_execnz .LBB14_50
.LBB14_36:                              ;   in Loop: Header=BB14_9 Depth=1
	s_or_b32 exec_lo, exec_lo, s0
	s_and_saveexec_b32 s0, s3
	s_cbranch_execnz .LBB14_51
.LBB14_37:                              ;   in Loop: Header=BB14_9 Depth=1
	s_or_b32 exec_lo, exec_lo, s0
	s_and_saveexec_b32 s0, s4
	s_cbranch_execnz .LBB14_52
.LBB14_38:                              ;   in Loop: Header=BB14_9 Depth=1
	s_or_b32 exec_lo, exec_lo, s0
	s_and_saveexec_b32 s0, s5
	s_cbranch_execnz .LBB14_53
.LBB14_39:                              ;   in Loop: Header=BB14_9 Depth=1
	s_or_b32 exec_lo, exec_lo, s0
	s_and_saveexec_b32 s0, s6
	s_cbranch_execz .LBB14_8
	s_branch .LBB14_54
.LBB14_40:                              ;   in Loop: Header=BB14_9 Depth=1
	global_store_b32 v[1:2], v22, off
	s_or_b32 exec_lo, exec_lo, s0
	v_cmp_gt_u32_e64 s0, s6, v4
	s_delay_alu instid0(VALU_DEP_1)
	s_and_saveexec_b32 s1, s0
	s_cbranch_execz .LBB14_25
.LBB14_41:                              ;   in Loop: Header=BB14_9 Depth=1
	global_store_b32 v[1:2], v23, off offset:4
	s_or_b32 exec_lo, exec_lo, s1
	v_cmp_gt_u32_e64 s1, s6, v5
	s_delay_alu instid0(VALU_DEP_1)
	s_and_saveexec_b32 s2, s1
	s_cbranch_execz .LBB14_26
.LBB14_42:                              ;   in Loop: Header=BB14_9 Depth=1
	global_store_b32 v[1:2], v26, off offset:8
	s_or_b32 exec_lo, exec_lo, s2
	v_cmp_gt_u32_e64 s2, s6, v6
	s_delay_alu instid0(VALU_DEP_1)
	s_and_saveexec_b32 s3, s2
	s_cbranch_execz .LBB14_27
.LBB14_43:                              ;   in Loop: Header=BB14_9 Depth=1
	global_store_b32 v[1:2], v28, off offset:12
	s_or_b32 exec_lo, exec_lo, s3
	v_cmp_gt_u32_e64 s3, s6, v7
	s_delay_alu instid0(VALU_DEP_1)
	s_and_saveexec_b32 s4, s3
	s_cbranch_execz .LBB14_28
.LBB14_44:                              ;   in Loop: Header=BB14_9 Depth=1
	global_store_b32 v[1:2], v30, off offset:16
	s_or_b32 exec_lo, exec_lo, s4
	v_cmp_gt_u32_e64 s4, s6, v8
	s_delay_alu instid0(VALU_DEP_1)
	s_and_saveexec_b32 s5, s4
	s_cbranch_execz .LBB14_29
.LBB14_45:                              ;   in Loop: Header=BB14_9 Depth=1
	global_store_b32 v[1:2], v31, off offset:20
	s_or_b32 exec_lo, exec_lo, s5
	v_cmp_gt_u32_e64 s5, s6, v9
	s_delay_alu instid0(VALU_DEP_1)
	s_and_saveexec_b32 s7, s5
	s_cbranch_execz .LBB14_30
.LBB14_46:                              ;   in Loop: Header=BB14_9 Depth=1
	global_store_b32 v[1:2], v32, off offset:24
	s_or_b32 exec_lo, exec_lo, s7
	v_cmp_gt_u32_e64 s6, s6, v10
	s_delay_alu instid0(VALU_DEP_1)
	s_and_saveexec_b32 s7, s6
	s_cbranch_execnz .LBB14_31
	s_branch .LBB14_32
.LBB14_47:                              ;   in Loop: Header=BB14_9 Depth=1
	global_store_b32 v[0:1], v14, off
	s_or_b32 exec_lo, exec_lo, s7
	s_and_saveexec_b32 s7, s0
	s_cbranch_execz .LBB14_34
.LBB14_48:                              ;   in Loop: Header=BB14_9 Depth=1
	v_add_nc_u32_e32 v2, 1, v13
	global_store_b32 v[0:1], v2, off offset:4
	s_or_b32 exec_lo, exec_lo, s7
	s_and_saveexec_b32 s0, s1
	s_cbranch_execz .LBB14_35
.LBB14_49:                              ;   in Loop: Header=BB14_9 Depth=1
	v_add_nc_u32_e32 v2, 2, v15
	global_store_b32 v[0:1], v2, off offset:8
	s_or_b32 exec_lo, exec_lo, s0
	s_and_saveexec_b32 s0, s2
	s_cbranch_execz .LBB14_36
.LBB14_50:                              ;   in Loop: Header=BB14_9 Depth=1
	v_add_nc_u32_e32 v2, 3, v16
	global_store_b32 v[0:1], v2, off offset:12
	s_or_b32 exec_lo, exec_lo, s0
	s_and_saveexec_b32 s0, s3
	s_cbranch_execz .LBB14_37
.LBB14_51:                              ;   in Loop: Header=BB14_9 Depth=1
	v_add_nc_u32_e32 v2, 4, v21
	global_store_b32 v[0:1], v2, off offset:16
	s_or_b32 exec_lo, exec_lo, s0
	s_and_saveexec_b32 s0, s4
	s_cbranch_execz .LBB14_38
.LBB14_52:                              ;   in Loop: Header=BB14_9 Depth=1
	v_add_nc_u32_e32 v2, 5, v24
	global_store_b32 v[0:1], v2, off offset:20
	s_or_b32 exec_lo, exec_lo, s0
	s_and_saveexec_b32 s0, s5
	s_cbranch_execz .LBB14_39
.LBB14_53:                              ;   in Loop: Header=BB14_9 Depth=1
	v_add_nc_u32_e32 v2, 6, v27
	global_store_b32 v[0:1], v2, off offset:24
	s_or_b32 exec_lo, exec_lo, s0
	s_and_saveexec_b32 s0, s6
	s_cbranch_execz .LBB14_8
.LBB14_54:                              ;   in Loop: Header=BB14_9 Depth=1
	v_add_nc_u32_e32 v2, 7, v29
	global_store_b32 v[0:1], v2, off offset:28
	s_branch .LBB14_8
.LBB14_55:
	s_nop 0
	s_sendmsg sendmsg(MSG_DEALLOC_VGPRS)
	s_endpgm
	.section	.rodata,"a",@progbits
	.p2align	6, 0x0
	.amdhsa_kernel _Z30block_run_length_decode_kernelIfiLj256ELj8ELj8EEvPKT_PKT0_PS0_PS3_
		.amdhsa_group_segment_fixed_size 16384
		.amdhsa_private_segment_fixed_size 0
		.amdhsa_kernarg_size 32
		.amdhsa_user_sgpr_count 15
		.amdhsa_user_sgpr_dispatch_ptr 0
		.amdhsa_user_sgpr_queue_ptr 0
		.amdhsa_user_sgpr_kernarg_segment_ptr 1
		.amdhsa_user_sgpr_dispatch_id 0
		.amdhsa_user_sgpr_private_segment_size 0
		.amdhsa_wavefront_size32 1
		.amdhsa_uses_dynamic_stack 0
		.amdhsa_enable_private_segment 0
		.amdhsa_system_sgpr_workgroup_id_x 1
		.amdhsa_system_sgpr_workgroup_id_y 0
		.amdhsa_system_sgpr_workgroup_id_z 0
		.amdhsa_system_sgpr_workgroup_info 0
		.amdhsa_system_vgpr_workitem_id 0
		.amdhsa_next_free_vgpr 33
		.amdhsa_next_free_sgpr 16
		.amdhsa_reserve_vcc 1
		.amdhsa_float_round_mode_32 0
		.amdhsa_float_round_mode_16_64 0
		.amdhsa_float_denorm_mode_32 3
		.amdhsa_float_denorm_mode_16_64 3
		.amdhsa_dx10_clamp 1
		.amdhsa_ieee_mode 1
		.amdhsa_fp16_overflow 0
		.amdhsa_workgroup_processor_mode 1
		.amdhsa_memory_ordered 1
		.amdhsa_forward_progress 0
		.amdhsa_shared_vgpr_count 0
		.amdhsa_exception_fp_ieee_invalid_op 0
		.amdhsa_exception_fp_denorm_src 0
		.amdhsa_exception_fp_ieee_div_zero 0
		.amdhsa_exception_fp_ieee_overflow 0
		.amdhsa_exception_fp_ieee_underflow 0
		.amdhsa_exception_fp_ieee_inexact 0
		.amdhsa_exception_int_div_zero 0
	.end_amdhsa_kernel
	.section	.text._Z30block_run_length_decode_kernelIfiLj256ELj8ELj8EEvPKT_PKT0_PS0_PS3_,"axG",@progbits,_Z30block_run_length_decode_kernelIfiLj256ELj8ELj8EEvPKT_PKT0_PS0_PS3_,comdat
.Lfunc_end14:
	.size	_Z30block_run_length_decode_kernelIfiLj256ELj8ELj8EEvPKT_PKT0_PS0_PS3_, .Lfunc_end14-_Z30block_run_length_decode_kernelIfiLj256ELj8ELj8EEvPKT_PKT0_PS0_PS3_
                                        ; -- End function
	.section	.AMDGPU.csdata,"",@progbits
; Kernel info:
; codeLenInByte = 3228
; NumSgprs: 18
; NumVgprs: 33
; ScratchSize: 0
; MemoryBound: 0
; FloatMode: 240
; IeeeMode: 1
; LDSByteSize: 16384 bytes/workgroup (compile time only)
; SGPRBlocks: 2
; VGPRBlocks: 4
; NumSGPRsForWavesPerEU: 18
; NumVGPRsForWavesPerEU: 33
; Occupancy: 16
; WaveLimiterHint : 0
; COMPUTE_PGM_RSRC2:SCRATCH_EN: 0
; COMPUTE_PGM_RSRC2:USER_SGPR: 15
; COMPUTE_PGM_RSRC2:TRAP_HANDLER: 0
; COMPUTE_PGM_RSRC2:TGID_X_EN: 1
; COMPUTE_PGM_RSRC2:TGID_Y_EN: 0
; COMPUTE_PGM_RSRC2:TGID_Z_EN: 0
; COMPUTE_PGM_RSRC2:TIDIG_COMP_CNT: 0
	.section	.text._Z30block_run_length_decode_kernelIcxLj256ELj8ELj8EEvPKT_PKT0_PS0_PS3_,"axG",@progbits,_Z30block_run_length_decode_kernelIcxLj256ELj8ELj8EEvPKT_PKT0_PS0_PS3_,comdat
	.protected	_Z30block_run_length_decode_kernelIcxLj256ELj8ELj8EEvPKT_PKT0_PS0_PS3_ ; -- Begin function _Z30block_run_length_decode_kernelIcxLj256ELj8ELj8EEvPKT_PKT0_PS0_PS3_
	.globl	_Z30block_run_length_decode_kernelIcxLj256ELj8ELj8EEvPKT_PKT0_PS0_PS3_
	.p2align	8
	.type	_Z30block_run_length_decode_kernelIcxLj256ELj8ELj8EEvPKT_PKT0_PS0_PS3_,@function
_Z30block_run_length_decode_kernelIcxLj256ELj8ELj8EEvPKT_PKT0_PS0_PS3_: ; @_Z30block_run_length_decode_kernelIcxLj256ELj8ELj8EEvPKT_PKT0_PS0_PS3_
; %bb.0:
	s_load_b256 s[0:7], s[0:1], 0x0
	v_lshlrev_b32_e32 v22, 3, v0
	v_mov_b32_e32 v18, 0
	s_delay_alu instid0(VALU_DEP_2) | instskip(NEXT) | instid1(VALU_DEP_1)
	v_lshl_or_b32 v17, s15, 11, v22
	v_lshlrev_b64 v[18:19], 3, v[17:18]
	s_waitcnt lgkmcnt(0)
	s_delay_alu instid0(VALU_DEP_1) | instskip(NEXT) | instid1(VALU_DEP_2)
	v_add_co_u32 v1, vcc_lo, s2, v18
	v_add_co_ci_u32_e32 v2, vcc_lo, s3, v19, vcc_lo
	s_clause 0x3
	global_load_b128 v[13:16], v[1:2], off
	global_load_b128 v[9:12], v[1:2], off offset:16
	global_load_b128 v[5:8], v[1:2], off offset:32
	;; [unrolled: 1-line block ×3, first 2 shown]
	global_load_b64 v[20:21], v17, s[0:1]
	s_waitcnt vmcnt(2)
	v_or_b32_e32 v8, 31, v0
	s_mov_b32 s0, exec_lo
	s_waitcnt vmcnt(1)
	v_add_nc_u32_e32 v2, v15, v13
	s_delay_alu instid0(VALU_DEP_1) | instskip(NEXT) | instid1(VALU_DEP_1)
	v_add3_u32 v2, v2, v9, v11
	v_add3_u32 v4, v2, v5, v7
	v_mbcnt_lo_u32_b32 v2, -1, 0
	s_delay_alu instid0(VALU_DEP_2) | instskip(NEXT) | instid1(VALU_DEP_2)
	v_add3_u32 v3, v4, v1, v3
	v_and_b32_e32 v4, 15, v2
	s_delay_alu instid0(VALU_DEP_2) | instskip(NEXT) | instid1(VALU_DEP_2)
	v_mov_b32_dpp v6, v3 row_shr:1 row_mask:0xf bank_mask:0xf
	v_cmp_ne_u32_e32 vcc_lo, 0, v4
	s_delay_alu instid0(VALU_DEP_2) | instskip(SKIP_1) | instid1(VALU_DEP_2)
	v_cndmask_b32_e32 v6, 0, v6, vcc_lo
	v_cmp_lt_u32_e32 vcc_lo, 1, v4
	v_add_nc_u32_e32 v3, v6, v3
	s_delay_alu instid0(VALU_DEP_1) | instskip(NEXT) | instid1(VALU_DEP_1)
	v_mov_b32_dpp v6, v3 row_shr:2 row_mask:0xf bank_mask:0xf
	v_cndmask_b32_e32 v6, 0, v6, vcc_lo
	v_cmp_lt_u32_e32 vcc_lo, 3, v4
	s_delay_alu instid0(VALU_DEP_2) | instskip(NEXT) | instid1(VALU_DEP_1)
	v_add_nc_u32_e32 v3, v3, v6
	v_mov_b32_dpp v6, v3 row_shr:4 row_mask:0xf bank_mask:0xf
	s_delay_alu instid0(VALU_DEP_1) | instskip(SKIP_1) | instid1(VALU_DEP_2)
	v_cndmask_b32_e32 v6, 0, v6, vcc_lo
	v_cmp_lt_u32_e32 vcc_lo, 7, v4
	v_add_nc_u32_e32 v3, v3, v6
	s_delay_alu instid0(VALU_DEP_1) | instskip(NEXT) | instid1(VALU_DEP_1)
	v_mov_b32_dpp v6, v3 row_shr:8 row_mask:0xf bank_mask:0xf
	v_cndmask_b32_e32 v4, 0, v6, vcc_lo
	v_bfe_i32 v6, v2, 4, 1
	s_delay_alu instid0(VALU_DEP_2) | instskip(SKIP_4) | instid1(VALU_DEP_2)
	v_add_nc_u32_e32 v3, v3, v4
	ds_swizzle_b32 v4, v3 offset:swizzle(BROADCAST,32,15)
	s_waitcnt lgkmcnt(0)
	v_and_b32_e32 v6, v6, v4
	v_lshrrev_b32_e32 v4, 5, v0
	v_add_nc_u32_e32 v3, v3, v6
	v_cmpx_eq_u32_e64 v8, v0
	s_cbranch_execz .LBB15_2
; %bb.1:
	s_delay_alu instid0(VALU_DEP_3)
	v_lshlrev_b32_e32 v6, 2, v4
	ds_store_b32 v6, v3
.LBB15_2:
	s_or_b32 exec_lo, exec_lo, s0
	s_delay_alu instid0(SALU_CYCLE_1)
	s_mov_b32 s0, exec_lo
	s_waitcnt vmcnt(0) lgkmcnt(0)
	s_barrier
	buffer_gl0_inv
	v_cmpx_gt_u32_e32 8, v0
	s_cbranch_execz .LBB15_4
; %bb.3:
	v_lshlrev_b32_e32 v6, 2, v0
	v_and_b32_e32 v10, 7, v2
	ds_load_b32 v8, v6
	v_cmp_ne_u32_e32 vcc_lo, 0, v10
	s_waitcnt lgkmcnt(0)
	v_mov_b32_dpp v12, v8 row_shr:1 row_mask:0xf bank_mask:0xf
	s_delay_alu instid0(VALU_DEP_1) | instskip(SKIP_1) | instid1(VALU_DEP_2)
	v_cndmask_b32_e32 v12, 0, v12, vcc_lo
	v_cmp_lt_u32_e32 vcc_lo, 1, v10
	v_add_nc_u32_e32 v8, v12, v8
	s_delay_alu instid0(VALU_DEP_1) | instskip(NEXT) | instid1(VALU_DEP_1)
	v_mov_b32_dpp v12, v8 row_shr:2 row_mask:0xf bank_mask:0xf
	v_cndmask_b32_e32 v12, 0, v12, vcc_lo
	v_cmp_lt_u32_e32 vcc_lo, 3, v10
	s_delay_alu instid0(VALU_DEP_2) | instskip(NEXT) | instid1(VALU_DEP_1)
	v_add_nc_u32_e32 v8, v8, v12
	v_mov_b32_dpp v12, v8 row_shr:4 row_mask:0xf bank_mask:0xf
	s_delay_alu instid0(VALU_DEP_1) | instskip(NEXT) | instid1(VALU_DEP_1)
	v_cndmask_b32_e32 v10, 0, v12, vcc_lo
	v_add_nc_u32_e32 v8, v8, v10
	ds_store_b32 v6, v8
.LBB15_4:
	s_or_b32 exec_lo, exec_lo, s0
	v_mov_b32_e32 v6, 0
	v_mov_b32_e32 v8, 0
	s_mov_b32 s0, exec_lo
	s_waitcnt lgkmcnt(0)
	s_barrier
	buffer_gl0_inv
	v_cmpx_lt_u32_e32 31, v0
	s_cbranch_execz .LBB15_6
; %bb.5:
	v_lshl_add_u32 v4, v4, 2, -4
	ds_load_b32 v8, v4
.LBB15_6:
	s_or_b32 exec_lo, exec_lo, s0
	v_add_nc_u32_e32 v4, -1, v2
	s_waitcnt lgkmcnt(0)
	v_add_nc_u32_e32 v3, v8, v3
	s_delay_alu instid0(VALU_DEP_2) | instskip(SKIP_2) | instid1(VALU_DEP_2)
	v_cmp_gt_i32_e32 vcc_lo, 0, v4
	v_cndmask_b32_e32 v4, v4, v2, vcc_lo
	v_cmp_eq_u32_e32 vcc_lo, 0, v2
	v_lshlrev_b32_e32 v4, 2, v4
	ds_bpermute_b32 v3, v4, v3
	ds_load_b32 v4, v6 offset:28
	s_waitcnt lgkmcnt(0)
	s_barrier
	buffer_gl0_inv
	ds_store_b64 v22, v[20:21]
	v_cndmask_b32_e32 v2, v3, v8, vcc_lo
	v_cmp_ne_u32_e32 vcc_lo, 0, v0
	v_readfirstlane_b32 s10, v4
	s_delay_alu instid0(VALU_DEP_3) | instskip(SKIP_1) | instid1(VALU_DEP_2)
	v_cndmask_b32_e32 v0, 0, v2, vcc_lo
	v_cmp_eq_u32_e32 vcc_lo, 0, v4
	v_add_nc_u32_e32 v2, v0, v13
	s_and_b32 vcc_lo, exec_lo, vcc_lo
	s_delay_alu instid0(VALU_DEP_1) | instskip(NEXT) | instid1(VALU_DEP_1)
	v_add_nc_u32_e32 v3, v2, v15
	v_add_nc_u32_e32 v6, v3, v9
	v_lshlrev_b32_e32 v9, 2, v22
	s_delay_alu instid0(VALU_DEP_2) | instskip(NEXT) | instid1(VALU_DEP_2)
	v_add_nc_u32_e32 v8, v6, v11
	v_add_nc_u32_e32 v10, 0x800, v9
	;; [unrolled: 1-line block ×6, first 2 shown]
	s_delay_alu instid0(VALU_DEP_1) | instskip(NEXT) | instid1(VALU_DEP_1)
	v_add_nc_u32_e32 v7, v5, v7
	v_add_nc_u32_e32 v1, v7, v1
	ds_store_2addr_b32 v10, v0, v2 offset1:1
	ds_store_2addr_b32 v11, v3, v6 offset1:1
	;; [unrolled: 1-line block ×4, first 2 shown]
	s_waitcnt lgkmcnt(0)
	s_barrier
	buffer_gl0_inv
	s_cbranch_vccnz .LBB15_55
; %bb.7:
	v_dual_mov_b32 v1, 0 :: v_dual_mov_b32 v26, 0x200
	v_add_co_u32 v0, vcc_lo, v18, s6
	v_add_co_ci_u32_e32 v3, vcc_lo, s7, v19, vcc_lo
	ds_load_b32 v15, v1 offset:6144
	v_add_co_u32 v13, s0, s4, v17
	v_add_co_u32 v2, vcc_lo, v0, 56
	v_add_co_ci_u32_e64 v14, null, s5, 0, s0
	v_or_b32_e32 v16, 1, v17
	v_or_b32_e32 v20, 2, v17
	;; [unrolled: 1-line block ×7, first 2 shown]
	v_add_co_ci_u32_e32 v3, vcc_lo, 0, v3, vcc_lo
	v_mov_b32_e32 v19, 0x400
	s_mov_b64 s[8:9], 0
	s_mov_b32 s7, s10
	s_branch .LBB15_9
.LBB15_8:                               ;   in Loop: Header=BB15_9 Depth=1
	s_or_b32 exec_lo, exec_lo, s0
	v_add_co_u32 v2, vcc_lo, 0x4000, v2
	v_add_co_ci_u32_e32 v3, vcc_lo, 0, v3, vcc_lo
	s_add_u32 s8, s8, 0x800
	s_addc_u32 s9, s9, 0
	s_addk_i32 s7, 0xf800
	s_cmp_lt_u32 s8, s10
	s_cbranch_scc0 .LBB15_55
.LBB15_9:                               ; =>This Inner Loop Header: Depth=1
	v_add_co_u32 v27, s0, v22, s8
	s_delay_alu instid0(VALU_DEP_1) | instskip(SKIP_1) | instid1(VALU_DEP_2)
	v_add_co_ci_u32_e64 v0, null, 0, s9, s0
	s_waitcnt lgkmcnt(0)
	v_cmp_gt_u32_e32 vcc_lo, v15, v27
	v_cndmask_b32_e32 v4, 0x600, v26, vcc_lo
	v_cndmask_b32_e64 v0, 0x401, 0, vcc_lo
	s_delay_alu instid0(VALU_DEP_2)
	v_dual_cndmask_b32 v6, 0x800, v19 :: v_dual_lshlrev_b32 v5, 2, v4
	v_or_b32_e32 v7, 1, v4
	ds_load_b32 v5, v5 offset:2048
	s_waitcnt lgkmcnt(0)
	v_cmp_gt_u32_e32 vcc_lo, v5, v27
	v_cndmask_b32_e32 v0, v7, v0, vcc_lo
	v_cndmask_b32_e32 v4, v6, v4, vcc_lo
	s_delay_alu instid0(VALU_DEP_1) | instskip(NEXT) | instid1(VALU_DEP_1)
	v_sub_nc_u32_e32 v5, v4, v0
	v_lshrrev_b16 v6, 15, v5
	s_delay_alu instid0(VALU_DEP_1) | instskip(NEXT) | instid1(VALU_DEP_1)
	v_add_nc_u16 v5, v5, v6
	v_ashrrev_i16 v5, 1, v5
	s_delay_alu instid0(VALU_DEP_1) | instskip(NEXT) | instid1(VALU_DEP_1)
	v_bfe_i32 v5, v5, 0, 16
	v_add_nc_u32_e32 v5, v0, v5
	s_delay_alu instid0(VALU_DEP_1) | instskip(NEXT) | instid1(VALU_DEP_1)
	v_min_i32_e32 v5, 0x7ff, v5
	v_lshlrev_b32_e32 v6, 2, v5
	v_add_nc_u32_e32 v7, 1, v5
	ds_load_b32 v6, v6 offset:2048
	s_waitcnt lgkmcnt(0)
	v_cmp_gt_u32_e32 vcc_lo, v6, v27
	v_cndmask_b32_e32 v0, v7, v0, vcc_lo
	v_cndmask_b32_e32 v4, v4, v5, vcc_lo
	s_delay_alu instid0(VALU_DEP_1) | instskip(NEXT) | instid1(VALU_DEP_1)
	v_sub_nc_u32_e32 v5, v4, v0
	v_lshrrev_b16 v6, 15, v5
	s_delay_alu instid0(VALU_DEP_1) | instskip(NEXT) | instid1(VALU_DEP_1)
	v_add_nc_u16 v5, v5, v6
	v_ashrrev_i16 v5, 1, v5
	s_delay_alu instid0(VALU_DEP_1) | instskip(NEXT) | instid1(VALU_DEP_1)
	v_bfe_i32 v5, v5, 0, 16
	v_add_nc_u32_e32 v5, v0, v5
	s_delay_alu instid0(VALU_DEP_1) | instskip(NEXT) | instid1(VALU_DEP_1)
	v_min_i32_e32 v5, 0x7ff, v5
	v_lshlrev_b32_e32 v6, 2, v5
	v_add_nc_u32_e32 v7, 1, v5
	;; [unrolled: 18-line block ×8, first 2 shown]
	ds_load_b32 v6, v6 offset:2048
	s_waitcnt lgkmcnt(0)
	v_cmp_gt_u32_e32 vcc_lo, v6, v27
	v_cndmask_b32_e32 v0, v7, v0, vcc_lo
	v_cndmask_b32_e32 v4, v4, v5, vcc_lo
	s_delay_alu instid0(VALU_DEP_1) | instskip(NEXT) | instid1(VALU_DEP_1)
	v_sub_nc_u32_e32 v5, v4, v0
	v_lshrrev_b32_e32 v6, 31, v5
	s_delay_alu instid0(VALU_DEP_1) | instskip(NEXT) | instid1(VALU_DEP_1)
	v_add_nc_u32_e32 v5, v5, v6
	v_ashrrev_i32_e32 v5, 1, v5
	s_delay_alu instid0(VALU_DEP_1) | instskip(NEXT) | instid1(VALU_DEP_1)
	v_add_nc_u32_e32 v5, v5, v0
	v_min_i32_e32 v5, 0x7ff, v5
	s_delay_alu instid0(VALU_DEP_1)
	v_lshlrev_b32_e32 v6, 2, v5
	v_add_nc_u32_e32 v7, 1, v5
	ds_load_b32 v6, v6 offset:2048
	s_waitcnt lgkmcnt(0)
	v_cmp_gt_u32_e32 vcc_lo, v6, v27
	v_cndmask_b32_e32 v0, v7, v0, vcc_lo
	v_cndmask_b32_e32 v4, v4, v5, vcc_lo
	s_delay_alu instid0(VALU_DEP_1) | instskip(NEXT) | instid1(VALU_DEP_1)
	v_sub_nc_u32_e32 v4, v4, v0
	v_lshrrev_b32_e32 v5, 31, v4
	s_delay_alu instid0(VALU_DEP_1) | instskip(NEXT) | instid1(VALU_DEP_1)
	v_add_nc_u32_e32 v4, v4, v5
	v_ashrrev_i32_e32 v4, 1, v4
	s_delay_alu instid0(VALU_DEP_1) | instskip(NEXT) | instid1(VALU_DEP_1)
	v_add_nc_u32_e32 v4, v4, v0
	v_min_i32_e32 v4, 0x7ff, v4
	s_delay_alu instid0(VALU_DEP_1)
	v_lshlrev_b32_e32 v5, 2, v4
	v_add_nc_u32_e32 v4, 1, v4
	ds_load_b32 v5, v5 offset:2048
	s_waitcnt lgkmcnt(0)
	v_cmp_gt_u32_e32 vcc_lo, v5, v27
	v_dual_cndmask_b32 v31, v4, v0 :: v_dual_add_nc_u32 v4, 1, v27
	s_delay_alu instid0(VALU_DEP_1) | instskip(NEXT) | instid1(VALU_DEP_1)
	v_lshlrev_b32_e32 v6, 2, v31
	v_add_nc_u32_e32 v0, 0x7fc, v6
	ds_load_2addr_b32 v[11:12], v0 offset1:1
	v_add_nc_u32_e32 v0, -1, v31
	ds_load_u8 v28, v0
	s_waitcnt lgkmcnt(1)
	v_sub_nc_u32_e32 v0, 0, v11
	s_delay_alu instid0(VALU_DEP_1)
	v_add_co_u32 v0, vcc_lo, v27, v0
	v_cmp_eq_u32_e32 vcc_lo, v4, v12
	v_mov_b32_e32 v5, v1
	s_waitcnt lgkmcnt(0)
	v_mov_b32_e32 v29, v28
	v_mov_b32_e32 v4, v0
	s_and_saveexec_b32 s0, vcc_lo
	s_cbranch_execz .LBB15_11
; %bb.10:                               ;   in Loop: Header=BB15_9 Depth=1
	ds_load_b32 v5, v6 offset:2052
	ds_load_u8 v29, v31
	v_sub_nc_u32_e32 v4, 0, v12
	v_add_nc_u32_e32 v31, 1, v31
	s_delay_alu instid0(VALU_DEP_2)
	v_add_co_u32 v4, vcc_lo, v27, v4
	s_waitcnt lgkmcnt(1)
	v_mov_b32_e32 v12, v5
.LBB15_11:                              ;   in Loop: Header=BB15_9 Depth=1
	s_or_b32 exec_lo, exec_lo, s0
	v_dual_mov_b32 v6, v5 :: v_dual_add_nc_u32 v7, 2, v27
	s_waitcnt lgkmcnt(0)
	v_dual_mov_b32 v5, v4 :: v_dual_mov_b32 v30, v29
	s_mov_b32 s0, exec_lo
	s_delay_alu instid0(VALU_DEP_2)
	v_cmpx_eq_u32_e64 v7, v12
	s_cbranch_execz .LBB15_13
; %bb.12:                               ;   in Loop: Header=BB15_9 Depth=1
	v_add_nc_u32_e32 v6, 1, v31
	s_delay_alu instid0(VALU_DEP_1) | instskip(SKIP_4) | instid1(VALU_DEP_2)
	v_lshlrev_b32_e32 v5, 2, v6
	ds_load_b32 v7, v5 offset:2048
	ds_load_u8 v30, v31
	v_sub_nc_u32_e32 v5, 0, v12
	v_mov_b32_e32 v31, v6
	v_add_co_u32 v5, vcc_lo, v27, v5
	s_waitcnt lgkmcnt(1)
	v_mov_b32_e32 v12, v7
.LBB15_13:                              ;   in Loop: Header=BB15_9 Depth=1
	s_or_b32 exec_lo, exec_lo, s0
	v_dual_mov_b32 v7, v6 :: v_dual_add_nc_u32 v8, 3, v27
	v_mov_b32_e32 v6, v5
	s_waitcnt lgkmcnt(0)
	v_mov_b32_e32 v32, v30
	s_mov_b32 s0, exec_lo
	v_cmpx_eq_u32_e64 v8, v12
	s_cbranch_execz .LBB15_15
; %bb.14:                               ;   in Loop: Header=BB15_9 Depth=1
	v_lshl_add_u32 v6, v31, 2, 0x800
	ds_load_2addr_b32 v[11:12], v6 offset1:1
	ds_load_u8 v32, v31
	v_add_nc_u32_e32 v31, 1, v31
	s_waitcnt lgkmcnt(1)
	v_sub_nc_u32_e32 v6, 0, v11
	s_delay_alu instid0(VALU_DEP_1)
	v_add_co_u32 v6, vcc_lo, v27, v6
.LBB15_15:                              ;   in Loop: Header=BB15_9 Depth=1
	s_or_b32 exec_lo, exec_lo, s0
	v_dual_mov_b32 v8, v7 :: v_dual_add_nc_u32 v9, 4, v27
	s_delay_alu instid0(VALU_DEP_2)
	v_mov_b32_e32 v7, v6
	s_waitcnt lgkmcnt(0)
	v_mov_b32_e32 v33, v32
	s_mov_b32 s0, exec_lo
	v_cmpx_eq_u32_e64 v9, v12
	s_cbranch_execz .LBB15_17
; %bb.16:                               ;   in Loop: Header=BB15_9 Depth=1
	v_lshl_add_u32 v7, v31, 2, 0x800
	ds_load_2addr_b32 v[11:12], v7 offset1:1
	ds_load_u8 v33, v31
	v_add_nc_u32_e32 v31, 1, v31
	s_waitcnt lgkmcnt(1)
	v_sub_nc_u32_e32 v7, 0, v11
	s_delay_alu instid0(VALU_DEP_1)
	v_add_co_u32 v7, vcc_lo, v27, v7
.LBB15_17:                              ;   in Loop: Header=BB15_9 Depth=1
	s_or_b32 exec_lo, exec_lo, s0
	v_dual_mov_b32 v9, v8 :: v_dual_add_nc_u32 v10, 5, v27
	s_delay_alu instid0(VALU_DEP_2)
	;; [unrolled: 19-line block ×3, first 2 shown]
	v_mov_b32_e32 v9, v8
	s_waitcnt lgkmcnt(0)
	v_mov_b32_e32 v35, v34
	s_mov_b32 s0, exec_lo
	v_cmpx_eq_u32_e64 v11, v12
	s_cbranch_execz .LBB15_21
; %bb.20:                               ;   in Loop: Header=BB15_9 Depth=1
	v_lshl_add_u32 v9, v31, 2, 0x800
	ds_load_2addr_b32 v[11:12], v9 offset1:1
	ds_load_u8 v35, v31
	v_add_nc_u32_e32 v31, 1, v31
	s_waitcnt lgkmcnt(1)
	v_sub_nc_u32_e32 v9, 0, v11
	s_delay_alu instid0(VALU_DEP_1)
	v_add_co_u32 v9, vcc_lo, v27, v9
.LBB15_21:                              ;   in Loop: Header=BB15_9 Depth=1
	s_or_b32 exec_lo, exec_lo, s0
	v_dual_mov_b32 v11, v10 :: v_dual_add_nc_u32 v36, 7, v27
	s_delay_alu instid0(VALU_DEP_2) | instskip(NEXT) | instid1(VALU_DEP_2)
	v_mov_b32_e32 v10, v9
	v_cmp_eq_u32_e32 vcc_lo, v36, v12
	s_waitcnt lgkmcnt(0)
	v_mov_b32_e32 v36, v35
	s_and_saveexec_b32 s0, vcc_lo
	s_cbranch_execz .LBB15_23
; %bb.22:                               ;   in Loop: Header=BB15_9 Depth=1
	v_lshlrev_b32_e32 v10, 2, v31
	ds_load_b32 v10, v10 offset:2048
	ds_load_u8 v36, v31
	s_waitcnt lgkmcnt(1)
	v_sub_nc_u32_e32 v10, 0, v10
	s_delay_alu instid0(VALU_DEP_1)
	v_add_co_u32 v10, vcc_lo, v27, v10
.LBB15_23:                              ;   in Loop: Header=BB15_9 Depth=1
	s_or_b32 exec_lo, exec_lo, s0
	s_min_u32 s11, s7, 0x800
	v_add_co_u32 v11, vcc_lo, v13, s8
	v_add_co_ci_u32_e32 v12, vcc_lo, s9, v14, vcc_lo
	v_cmp_gt_u32_e64 s6, s11, v17
	s_delay_alu instid0(VALU_DEP_1)
	s_and_saveexec_b32 s0, s6
	s_cbranch_execnz .LBB15_39
; %bb.24:                               ;   in Loop: Header=BB15_9 Depth=1
	s_or_b32 exec_lo, exec_lo, s0
	v_cmp_gt_u32_e64 s5, s11, v16
	s_delay_alu instid0(VALU_DEP_1)
	s_and_saveexec_b32 s0, s5
	s_cbranch_execnz .LBB15_40
.LBB15_25:                              ;   in Loop: Header=BB15_9 Depth=1
	s_or_b32 exec_lo, exec_lo, s0
	v_cmp_gt_u32_e64 s4, s11, v20
	s_delay_alu instid0(VALU_DEP_1)
	s_and_saveexec_b32 s0, s4
	s_cbranch_execnz .LBB15_41
.LBB15_26:                              ;   in Loop: Header=BB15_9 Depth=1
	s_or_b32 exec_lo, exec_lo, s0
	v_cmp_gt_u32_e64 s3, s11, v21
	s_delay_alu instid0(VALU_DEP_1)
	s_and_saveexec_b32 s0, s3
	s_cbranch_execnz .LBB15_42
.LBB15_27:                              ;   in Loop: Header=BB15_9 Depth=1
	s_or_b32 exec_lo, exec_lo, s0
	v_cmp_gt_u32_e64 s2, s11, v23
	s_delay_alu instid0(VALU_DEP_1)
	s_and_saveexec_b32 s0, s2
	s_cbranch_execnz .LBB15_43
.LBB15_28:                              ;   in Loop: Header=BB15_9 Depth=1
	s_or_b32 exec_lo, exec_lo, s0
	v_cmp_gt_u32_e64 s1, s11, v24
	s_delay_alu instid0(VALU_DEP_1)
	s_and_saveexec_b32 s0, s1
	s_cbranch_execnz .LBB15_44
.LBB15_29:                              ;   in Loop: Header=BB15_9 Depth=1
	s_or_b32 exec_lo, exec_lo, s0
	v_cmp_gt_u32_e64 s0, s11, v25
	s_delay_alu instid0(VALU_DEP_1)
	s_and_saveexec_b32 s12, s0
	s_cbranch_execnz .LBB15_45
.LBB15_30:                              ;   in Loop: Header=BB15_9 Depth=1
	s_or_b32 exec_lo, exec_lo, s12
	v_cmp_gt_u32_e32 vcc_lo, s11, v18
	s_and_saveexec_b32 s11, vcc_lo
	s_cbranch_execnz .LBB15_46
.LBB15_31:                              ;   in Loop: Header=BB15_9 Depth=1
	s_or_b32 exec_lo, exec_lo, s11
	s_and_saveexec_b32 s11, s6
	s_cbranch_execnz .LBB15_47
.LBB15_32:                              ;   in Loop: Header=BB15_9 Depth=1
	s_or_b32 exec_lo, exec_lo, s11
	s_and_saveexec_b32 s6, s5
	s_cbranch_execnz .LBB15_48
.LBB15_33:                              ;   in Loop: Header=BB15_9 Depth=1
	s_or_b32 exec_lo, exec_lo, s6
	s_and_saveexec_b32 s5, s4
	s_cbranch_execnz .LBB15_49
.LBB15_34:                              ;   in Loop: Header=BB15_9 Depth=1
	s_or_b32 exec_lo, exec_lo, s5
	s_and_saveexec_b32 s4, s3
	s_cbranch_execnz .LBB15_50
.LBB15_35:                              ;   in Loop: Header=BB15_9 Depth=1
	s_or_b32 exec_lo, exec_lo, s4
	s_and_saveexec_b32 s3, s2
	s_cbranch_execnz .LBB15_51
.LBB15_36:                              ;   in Loop: Header=BB15_9 Depth=1
	s_or_b32 exec_lo, exec_lo, s3
	s_and_saveexec_b32 s2, s1
	s_cbranch_execnz .LBB15_52
.LBB15_37:                              ;   in Loop: Header=BB15_9 Depth=1
	s_or_b32 exec_lo, exec_lo, s2
	s_and_saveexec_b32 s1, s0
	s_cbranch_execnz .LBB15_53
.LBB15_38:                              ;   in Loop: Header=BB15_9 Depth=1
	s_or_b32 exec_lo, exec_lo, s1
	s_and_saveexec_b32 s0, vcc_lo
	s_cbranch_execz .LBB15_8
	s_branch .LBB15_54
.LBB15_39:                              ;   in Loop: Header=BB15_9 Depth=1
	global_store_b8 v[11:12], v28, off
	s_or_b32 exec_lo, exec_lo, s0
	v_cmp_gt_u32_e64 s5, s11, v16
	s_delay_alu instid0(VALU_DEP_1)
	s_and_saveexec_b32 s0, s5
	s_cbranch_execz .LBB15_25
.LBB15_40:                              ;   in Loop: Header=BB15_9 Depth=1
	global_store_b8 v[11:12], v29, off offset:1
	s_or_b32 exec_lo, exec_lo, s0
	v_cmp_gt_u32_e64 s4, s11, v20
	s_delay_alu instid0(VALU_DEP_1)
	s_and_saveexec_b32 s0, s4
	s_cbranch_execz .LBB15_26
.LBB15_41:                              ;   in Loop: Header=BB15_9 Depth=1
	global_store_b8 v[11:12], v30, off offset:2
	s_or_b32 exec_lo, exec_lo, s0
	v_cmp_gt_u32_e64 s3, s11, v21
	s_delay_alu instid0(VALU_DEP_1)
	s_and_saveexec_b32 s0, s3
	s_cbranch_execz .LBB15_27
.LBB15_42:                              ;   in Loop: Header=BB15_9 Depth=1
	global_store_b8 v[11:12], v32, off offset:3
	s_or_b32 exec_lo, exec_lo, s0
	v_cmp_gt_u32_e64 s2, s11, v23
	s_delay_alu instid0(VALU_DEP_1)
	s_and_saveexec_b32 s0, s2
	s_cbranch_execz .LBB15_28
.LBB15_43:                              ;   in Loop: Header=BB15_9 Depth=1
	global_store_b8 v[11:12], v33, off offset:4
	s_or_b32 exec_lo, exec_lo, s0
	v_cmp_gt_u32_e64 s1, s11, v24
	s_delay_alu instid0(VALU_DEP_1)
	s_and_saveexec_b32 s0, s1
	s_cbranch_execz .LBB15_29
.LBB15_44:                              ;   in Loop: Header=BB15_9 Depth=1
	global_store_b8 v[11:12], v34, off offset:5
	s_or_b32 exec_lo, exec_lo, s0
	v_cmp_gt_u32_e64 s0, s11, v25
	s_delay_alu instid0(VALU_DEP_1)
	s_and_saveexec_b32 s12, s0
	s_cbranch_execz .LBB15_30
.LBB15_45:                              ;   in Loop: Header=BB15_9 Depth=1
	global_store_b8 v[11:12], v35, off offset:6
	s_or_b32 exec_lo, exec_lo, s12
	v_cmp_gt_u32_e32 vcc_lo, s11, v18
	s_and_saveexec_b32 s11, vcc_lo
	s_cbranch_execz .LBB15_31
.LBB15_46:                              ;   in Loop: Header=BB15_9 Depth=1
	s_waitcnt lgkmcnt(0)
	global_store_b8 v[11:12], v36, off offset:7
	s_or_b32 exec_lo, exec_lo, s11
	s_and_saveexec_b32 s11, s6
	s_cbranch_execz .LBB15_32
.LBB15_47:                              ;   in Loop: Header=BB15_9 Depth=1
	global_store_b64 v[2:3], v[0:1], off offset:-56
	s_or_b32 exec_lo, exec_lo, s11
	s_and_saveexec_b32 s6, s5
	s_cbranch_execz .LBB15_33
.LBB15_48:                              ;   in Loop: Header=BB15_9 Depth=1
	v_add_nc_u32_e32 v0, 1, v4
	global_store_b64 v[2:3], v[0:1], off offset:-48
	s_or_b32 exec_lo, exec_lo, s6
	s_and_saveexec_b32 s5, s4
	s_cbranch_execz .LBB15_34
.LBB15_49:                              ;   in Loop: Header=BB15_9 Depth=1
	v_add_nc_u32_e32 v0, 2, v5
	global_store_b64 v[2:3], v[0:1], off offset:-40
	s_or_b32 exec_lo, exec_lo, s5
	s_and_saveexec_b32 s4, s3
	s_cbranch_execz .LBB15_35
.LBB15_50:                              ;   in Loop: Header=BB15_9 Depth=1
	v_add_nc_u32_e32 v0, 3, v6
	global_store_b64 v[2:3], v[0:1], off offset:-32
	s_or_b32 exec_lo, exec_lo, s4
	s_and_saveexec_b32 s3, s2
	s_cbranch_execz .LBB15_36
.LBB15_51:                              ;   in Loop: Header=BB15_9 Depth=1
	v_add_nc_u32_e32 v0, 4, v7
	global_store_b64 v[2:3], v[0:1], off offset:-24
	s_or_b32 exec_lo, exec_lo, s3
	s_and_saveexec_b32 s2, s1
	s_cbranch_execz .LBB15_37
.LBB15_52:                              ;   in Loop: Header=BB15_9 Depth=1
	v_add_nc_u32_e32 v0, 5, v8
	global_store_b64 v[2:3], v[0:1], off offset:-16
	s_or_b32 exec_lo, exec_lo, s2
	s_and_saveexec_b32 s1, s0
	s_cbranch_execz .LBB15_38
.LBB15_53:                              ;   in Loop: Header=BB15_9 Depth=1
	v_add_nc_u32_e32 v0, 6, v9
	global_store_b64 v[2:3], v[0:1], off offset:-8
	s_or_b32 exec_lo, exec_lo, s1
	s_and_saveexec_b32 s0, vcc_lo
	s_cbranch_execz .LBB15_8
.LBB15_54:                              ;   in Loop: Header=BB15_9 Depth=1
	v_add_nc_u32_e32 v0, 7, v10
	global_store_b64 v[2:3], v[0:1], off
	s_branch .LBB15_8
.LBB15_55:
	s_nop 0
	s_sendmsg sendmsg(MSG_DEALLOC_VGPRS)
	s_endpgm
	.section	.rodata,"a",@progbits
	.p2align	6, 0x0
	.amdhsa_kernel _Z30block_run_length_decode_kernelIcxLj256ELj8ELj8EEvPKT_PKT0_PS0_PS3_
		.amdhsa_group_segment_fixed_size 10240
		.amdhsa_private_segment_fixed_size 0
		.amdhsa_kernarg_size 32
		.amdhsa_user_sgpr_count 15
		.amdhsa_user_sgpr_dispatch_ptr 0
		.amdhsa_user_sgpr_queue_ptr 0
		.amdhsa_user_sgpr_kernarg_segment_ptr 1
		.amdhsa_user_sgpr_dispatch_id 0
		.amdhsa_user_sgpr_private_segment_size 0
		.amdhsa_wavefront_size32 1
		.amdhsa_uses_dynamic_stack 0
		.amdhsa_enable_private_segment 0
		.amdhsa_system_sgpr_workgroup_id_x 1
		.amdhsa_system_sgpr_workgroup_id_y 0
		.amdhsa_system_sgpr_workgroup_id_z 0
		.amdhsa_system_sgpr_workgroup_info 0
		.amdhsa_system_vgpr_workitem_id 0
		.amdhsa_next_free_vgpr 37
		.amdhsa_next_free_sgpr 16
		.amdhsa_reserve_vcc 1
		.amdhsa_float_round_mode_32 0
		.amdhsa_float_round_mode_16_64 0
		.amdhsa_float_denorm_mode_32 3
		.amdhsa_float_denorm_mode_16_64 3
		.amdhsa_dx10_clamp 1
		.amdhsa_ieee_mode 1
		.amdhsa_fp16_overflow 0
		.amdhsa_workgroup_processor_mode 1
		.amdhsa_memory_ordered 1
		.amdhsa_forward_progress 0
		.amdhsa_shared_vgpr_count 0
		.amdhsa_exception_fp_ieee_invalid_op 0
		.amdhsa_exception_fp_denorm_src 0
		.amdhsa_exception_fp_ieee_div_zero 0
		.amdhsa_exception_fp_ieee_overflow 0
		.amdhsa_exception_fp_ieee_underflow 0
		.amdhsa_exception_fp_ieee_inexact 0
		.amdhsa_exception_int_div_zero 0
	.end_amdhsa_kernel
	.section	.text._Z30block_run_length_decode_kernelIcxLj256ELj8ELj8EEvPKT_PKT0_PS0_PS3_,"axG",@progbits,_Z30block_run_length_decode_kernelIcxLj256ELj8ELj8EEvPKT_PKT0_PS0_PS3_,comdat
.Lfunc_end15:
	.size	_Z30block_run_length_decode_kernelIcxLj256ELj8ELj8EEvPKT_PKT0_PS0_PS3_, .Lfunc_end15-_Z30block_run_length_decode_kernelIcxLj256ELj8ELj8EEvPKT_PKT0_PS0_PS3_
                                        ; -- End function
	.section	.AMDGPU.csdata,"",@progbits
; Kernel info:
; codeLenInByte = 3344
; NumSgprs: 18
; NumVgprs: 37
; ScratchSize: 0
; MemoryBound: 0
; FloatMode: 240
; IeeeMode: 1
; LDSByteSize: 10240 bytes/workgroup (compile time only)
; SGPRBlocks: 2
; VGPRBlocks: 4
; NumSGPRsForWavesPerEU: 18
; NumVGPRsForWavesPerEU: 37
; Occupancy: 16
; WaveLimiterHint : 0
; COMPUTE_PGM_RSRC2:SCRATCH_EN: 0
; COMPUTE_PGM_RSRC2:USER_SGPR: 15
; COMPUTE_PGM_RSRC2:TRAP_HANDLER: 0
; COMPUTE_PGM_RSRC2:TGID_X_EN: 1
; COMPUTE_PGM_RSRC2:TGID_Y_EN: 0
; COMPUTE_PGM_RSRC2:TGID_Z_EN: 0
; COMPUTE_PGM_RSRC2:TIDIG_COMP_CNT: 0
	.section	.text._Z30block_run_length_decode_kernelIdcLj256ELj8ELj8EEvPKT_PKT0_PS0_PS3_,"axG",@progbits,_Z30block_run_length_decode_kernelIdcLj256ELj8ELj8EEvPKT_PKT0_PS0_PS3_,comdat
	.protected	_Z30block_run_length_decode_kernelIdcLj256ELj8ELj8EEvPKT_PKT0_PS0_PS3_ ; -- Begin function _Z30block_run_length_decode_kernelIdcLj256ELj8ELj8EEvPKT_PKT0_PS0_PS3_
	.globl	_Z30block_run_length_decode_kernelIdcLj256ELj8ELj8EEvPKT_PKT0_PS0_PS3_
	.p2align	8
	.type	_Z30block_run_length_decode_kernelIdcLj256ELj8ELj8EEvPKT_PKT0_PS0_PS3_,@function
_Z30block_run_length_decode_kernelIdcLj256ELj8ELj8EEvPKT_PKT0_PS0_PS3_: ; @_Z30block_run_length_decode_kernelIdcLj256ELj8ELj8EEvPKT_PKT0_PS0_PS3_
; %bb.0:
	s_load_b256 s[0:7], s[0:1], 0x0
	v_lshlrev_b32_e32 v32, 3, v0
	v_or_b32_e32 v31, 31, v0
	s_delay_alu instid0(VALU_DEP_2)
	v_lshl_or_b32 v17, s15, 11, v32
	s_waitcnt lgkmcnt(0)
	global_load_b64 v[27:28], v17, s[2:3]
	s_waitcnt vmcnt(0)
	v_bfe_i32 v26, v27, 0, 8
	v_bfe_i32 v24, v27, 8, 8
	;; [unrolled: 1-line block ×3, first 2 shown]
	v_ashrrev_i32_e32 v23, 24, v27
	v_bfe_i32 v22, v28, 0, 8
	v_bfe_i32 v21, v28, 8, 8
	v_add_nc_u32_e32 v20, v24, v26
	s_delay_alu instid0(VALU_DEP_1) | instskip(SKIP_2) | instid1(VALU_DEP_3)
	v_add3_u32 v27, v20, v25, v23
	v_bfe_i32 v20, v28, 16, 8
	v_ashrrev_i32_e32 v28, 24, v28
	v_add3_u32 v29, v27, v22, v21
	v_mbcnt_lo_u32_b32 v27, -1, 0
	v_mov_b32_e32 v18, 0
	s_delay_alu instid0(VALU_DEP_3) | instskip(NEXT) | instid1(VALU_DEP_3)
	v_add3_u32 v28, v29, v20, v28
	v_and_b32_e32 v29, 15, v27
	s_delay_alu instid0(VALU_DEP_3) | instskip(NEXT) | instid1(VALU_DEP_3)
	v_lshlrev_b64 v[18:19], 3, v[17:18]
	v_mov_b32_dpp v30, v28 row_shr:1 row_mask:0xf bank_mask:0xf
	s_delay_alu instid0(VALU_DEP_2) | instskip(NEXT) | instid1(VALU_DEP_3)
	v_add_co_u32 v13, vcc_lo, s0, v18
	v_add_co_ci_u32_e32 v14, vcc_lo, s1, v19, vcc_lo
	s_clause 0x3
	global_load_b128 v[1:4], v[13:14], off offset:48
	global_load_b128 v[5:8], v[13:14], off offset:32
	;; [unrolled: 1-line block ×3, first 2 shown]
	global_load_b128 v[13:16], v[13:14], off
	v_cmp_ne_u32_e32 vcc_lo, 0, v29
	s_mov_b32 s0, exec_lo
	v_cndmask_b32_e32 v30, 0, v30, vcc_lo
	v_cmp_lt_u32_e32 vcc_lo, 1, v29
	s_delay_alu instid0(VALU_DEP_2) | instskip(NEXT) | instid1(VALU_DEP_1)
	v_add_nc_u32_e32 v28, v30, v28
	v_mov_b32_dpp v30, v28 row_shr:2 row_mask:0xf bank_mask:0xf
	s_delay_alu instid0(VALU_DEP_1) | instskip(SKIP_1) | instid1(VALU_DEP_2)
	v_cndmask_b32_e32 v30, 0, v30, vcc_lo
	v_cmp_lt_u32_e32 vcc_lo, 3, v29
	v_add_nc_u32_e32 v28, v28, v30
	s_delay_alu instid0(VALU_DEP_1) | instskip(NEXT) | instid1(VALU_DEP_1)
	v_mov_b32_dpp v30, v28 row_shr:4 row_mask:0xf bank_mask:0xf
	v_cndmask_b32_e32 v30, 0, v30, vcc_lo
	v_cmp_lt_u32_e32 vcc_lo, 7, v29
	s_delay_alu instid0(VALU_DEP_2) | instskip(NEXT) | instid1(VALU_DEP_1)
	v_add_nc_u32_e32 v28, v28, v30
	v_mov_b32_dpp v30, v28 row_shr:8 row_mask:0xf bank_mask:0xf
	s_delay_alu instid0(VALU_DEP_1) | instskip(SKIP_1) | instid1(VALU_DEP_2)
	v_cndmask_b32_e32 v29, 0, v30, vcc_lo
	v_bfe_i32 v30, v27, 4, 1
	v_add_nc_u32_e32 v28, v28, v29
	ds_swizzle_b32 v29, v28 offset:swizzle(BROADCAST,32,15)
	s_waitcnt lgkmcnt(0)
	v_and_b32_e32 v30, v30, v29
	v_lshrrev_b32_e32 v29, 5, v0
	s_delay_alu instid0(VALU_DEP_2)
	v_add_nc_u32_e32 v28, v28, v30
	v_cmpx_eq_u32_e64 v31, v0
	s_cbranch_execz .LBB16_2
; %bb.1:
	s_delay_alu instid0(VALU_DEP_3)
	v_lshlrev_b32_e32 v30, 2, v29
	ds_store_b32 v30, v28
.LBB16_2:
	s_or_b32 exec_lo, exec_lo, s0
	s_delay_alu instid0(SALU_CYCLE_1)
	s_mov_b32 s0, exec_lo
	s_waitcnt vmcnt(0) lgkmcnt(0)
	s_barrier
	buffer_gl0_inv
	v_cmpx_gt_u32_e32 8, v0
	s_cbranch_execz .LBB16_4
; %bb.3:
	v_lshlrev_b32_e32 v30, 2, v0
	ds_load_b32 v31, v30
	s_waitcnt lgkmcnt(0)
	v_mov_b32_dpp v34, v31 row_shr:1 row_mask:0xf bank_mask:0xf
	v_and_b32_e32 v33, 7, v27
	s_delay_alu instid0(VALU_DEP_1) | instskip(NEXT) | instid1(VALU_DEP_3)
	v_cmp_ne_u32_e32 vcc_lo, 0, v33
	v_cndmask_b32_e32 v34, 0, v34, vcc_lo
	v_cmp_lt_u32_e32 vcc_lo, 1, v33
	s_delay_alu instid0(VALU_DEP_2) | instskip(NEXT) | instid1(VALU_DEP_1)
	v_add_nc_u32_e32 v31, v34, v31
	v_mov_b32_dpp v34, v31 row_shr:2 row_mask:0xf bank_mask:0xf
	s_delay_alu instid0(VALU_DEP_1) | instskip(SKIP_1) | instid1(VALU_DEP_2)
	v_cndmask_b32_e32 v34, 0, v34, vcc_lo
	v_cmp_lt_u32_e32 vcc_lo, 3, v33
	v_add_nc_u32_e32 v31, v31, v34
	s_delay_alu instid0(VALU_DEP_1) | instskip(NEXT) | instid1(VALU_DEP_1)
	v_mov_b32_dpp v34, v31 row_shr:4 row_mask:0xf bank_mask:0xf
	v_cndmask_b32_e32 v33, 0, v34, vcc_lo
	s_delay_alu instid0(VALU_DEP_1)
	v_add_nc_u32_e32 v31, v31, v33
	ds_store_b32 v30, v31
.LBB16_4:
	s_or_b32 exec_lo, exec_lo, s0
	v_dual_mov_b32 v30, 0 :: v_dual_mov_b32 v31, 0
	s_mov_b32 s0, exec_lo
	s_waitcnt lgkmcnt(0)
	s_barrier
	buffer_gl0_inv
	v_cmpx_lt_u32_e32 31, v0
	s_cbranch_execz .LBB16_6
; %bb.5:
	v_lshl_add_u32 v29, v29, 2, -4
	ds_load_b32 v31, v29
.LBB16_6:
	s_or_b32 exec_lo, exec_lo, s0
	v_add_nc_u32_e32 v29, -1, v27
	s_waitcnt lgkmcnt(0)
	v_add_nc_u32_e32 v28, v31, v28
	s_delay_alu instid0(VALU_DEP_2) | instskip(SKIP_2) | instid1(VALU_DEP_2)
	v_cmp_gt_i32_e32 vcc_lo, 0, v29
	v_cndmask_b32_e32 v29, v29, v27, vcc_lo
	v_cmp_eq_u32_e32 vcc_lo, 0, v27
	v_lshlrev_b32_e32 v29, 2, v29
	ds_bpermute_b32 v28, v29, v28
	v_lshlrev_b32_e32 v29, 3, v32
	s_waitcnt lgkmcnt(0)
	v_cndmask_b32_e32 v27, v28, v31, vcc_lo
	v_cmp_ne_u32_e32 vcc_lo, 0, v0
	v_lshlrev_b32_e32 v28, 2, v32
	s_delay_alu instid0(VALU_DEP_3)
	v_cndmask_b32_e32 v0, 0, v27, vcc_lo
	ds_load_b32 v27, v30 offset:28
	s_waitcnt lgkmcnt(0)
	s_barrier
	buffer_gl0_inv
	v_add_nc_u32_e32 v26, v0, v26
	v_add_nc_u32_e32 v31, 0x4008, v28
	ds_store_2addr_b64 v29, v[13:14], v[15:16] offset1:1
	ds_store_2addr_b64 v29, v[9:10], v[11:12] offset0:2 offset1:3
	v_or_b32_e32 v30, 0x4000, v28
	v_add_nc_u32_e32 v9, 0x4010, v28
	v_add_nc_u32_e32 v24, v26, v24
	s_delay_alu instid0(VALU_DEP_1) | instskip(NEXT) | instid1(VALU_DEP_1)
	v_add_nc_u32_e32 v25, v24, v25
	v_add_nc_u32_e32 v23, v25, v23
	v_cmp_eq_u32_e32 vcc_lo, 0, v27
	v_readfirstlane_b32 s10, v27
	s_delay_alu instid0(VALU_DEP_3) | instskip(SKIP_4) | instid1(VALU_DEP_1)
	v_add_nc_u32_e32 v22, v23, v22
	s_and_b32 vcc_lo, exec_lo, vcc_lo
	ds_store_2addr_b32 v31, v24, v25 offset1:1
	ds_store_2addr_b32 v9, v23, v22 offset1:1
	v_add_nc_u32_e32 v10, v22, v21
	v_add_nc_u32_e32 v9, v10, v20
	ds_store_2addr_b32 v30, v0, v26 offset1:1
	ds_store_b32 v28, v10 offset:16408
	ds_store_2addr_b64 v29, v[5:6], v[7:8] offset0:4 offset1:5
	ds_store_2addr_b64 v29, v[1:2], v[3:4] offset0:6 offset1:7
	ds_store_b32 v28, v9 offset:16412
	s_waitcnt lgkmcnt(0)
	s_barrier
	buffer_gl0_inv
	s_cbranch_vccnz .LBB16_55
; %bb.7:
	v_dual_mov_b32 v0, 0 :: v_dual_mov_b32 v43, 0x400
	v_add_co_u32 v33, s0, s6, v17
	s_delay_alu instid0(VALU_DEP_1) | instskip(SKIP_4) | instid1(VALU_DEP_3)
	v_add_co_ci_u32_e64 v34, null, s7, 0, s0
	ds_load_b32 v35, v0 offset:20480
	v_add_co_u32 v0, vcc_lo, v18, s4
	v_add_co_ci_u32_e32 v1, vcc_lo, s5, v19, vcc_lo
	v_or_b32_e32 v36, 1, v17
	v_add_co_u32 v0, vcc_lo, v0, 56
	v_or_b32_e32 v37, 2, v17
	v_or_b32_e32 v38, 3, v17
	v_or_b32_e32 v39, 4, v17
	v_or_b32_e32 v40, 5, v17
	v_or_b32_e32 v41, 6, v17
	v_or_b32_e32 v42, 7, v17
	v_add_co_ci_u32_e32 v1, vcc_lo, 0, v1, vcc_lo
	v_mov_b32_e32 v44, 0x200
	s_mov_b64 s[8:9], 0
	s_mov_b32 s11, s10
	s_branch .LBB16_9
.LBB16_8:                               ;   in Loop: Header=BB16_9 Depth=1
	s_or_b32 exec_lo, exec_lo, s0
	v_add_co_u32 v0, vcc_lo, 0x4000, v0
	v_add_co_ci_u32_e32 v1, vcc_lo, 0, v1, vcc_lo
	s_add_u32 s8, s8, 0x800
	s_addc_u32 s9, s9, 0
	s_addk_i32 s11, 0xf800
	s_cmp_lt_u32 s8, s10
	s_cbranch_scc0 .LBB16_55
.LBB16_9:                               ; =>This Inner Loop Header: Depth=1
	v_add_co_u32 v45, s0, v32, s8
	s_delay_alu instid0(VALU_DEP_1) | instskip(SKIP_1) | instid1(VALU_DEP_2)
	v_add_co_ci_u32_e64 v2, null, 0, s9, s0
	s_waitcnt lgkmcnt(0)
	v_cmp_gt_u32_e32 vcc_lo, v35, v45
	v_cndmask_b32_e32 v3, 0x600, v44, vcc_lo
	v_cndmask_b32_e64 v2, 0x401, 0, vcc_lo
	v_cndmask_b32_e32 v5, 0x800, v43, vcc_lo
	s_delay_alu instid0(VALU_DEP_3)
	v_lshlrev_b32_e32 v4, 2, v3
	v_or_b32_e32 v6, 1, v3
	ds_load_b32 v4, v4 offset:16384
	s_waitcnt lgkmcnt(0)
	v_cmp_gt_u32_e32 vcc_lo, v4, v45
	v_dual_cndmask_b32 v2, v6, v2 :: v_dual_cndmask_b32 v3, v5, v3
	s_delay_alu instid0(VALU_DEP_1) | instskip(NEXT) | instid1(VALU_DEP_1)
	v_sub_nc_u32_e32 v4, v3, v2
	v_lshrrev_b16 v5, 15, v4
	s_delay_alu instid0(VALU_DEP_1) | instskip(NEXT) | instid1(VALU_DEP_1)
	v_add_nc_u16 v4, v4, v5
	v_ashrrev_i16 v4, 1, v4
	s_delay_alu instid0(VALU_DEP_1) | instskip(NEXT) | instid1(VALU_DEP_1)
	v_bfe_i32 v4, v4, 0, 16
	v_add_nc_u32_e32 v4, v2, v4
	s_delay_alu instid0(VALU_DEP_1) | instskip(NEXT) | instid1(VALU_DEP_1)
	v_min_i32_e32 v4, 0x7ff, v4
	v_add_nc_u32_e32 v6, 1, v4
	v_lshlrev_b32_e32 v5, 2, v4
	ds_load_b32 v5, v5 offset:16384
	s_waitcnt lgkmcnt(0)
	v_cmp_gt_u32_e32 vcc_lo, v5, v45
	v_dual_cndmask_b32 v2, v6, v2 :: v_dual_cndmask_b32 v3, v3, v4
	s_delay_alu instid0(VALU_DEP_1) | instskip(NEXT) | instid1(VALU_DEP_1)
	v_sub_nc_u32_e32 v4, v3, v2
	v_lshrrev_b16 v5, 15, v4
	s_delay_alu instid0(VALU_DEP_1) | instskip(NEXT) | instid1(VALU_DEP_1)
	v_add_nc_u16 v4, v4, v5
	v_ashrrev_i16 v4, 1, v4
	s_delay_alu instid0(VALU_DEP_1) | instskip(NEXT) | instid1(VALU_DEP_1)
	v_bfe_i32 v4, v4, 0, 16
	v_add_nc_u32_e32 v4, v2, v4
	s_delay_alu instid0(VALU_DEP_1) | instskip(NEXT) | instid1(VALU_DEP_1)
	v_min_i32_e32 v4, 0x7ff, v4
	v_lshlrev_b32_e32 v5, 2, v4
	v_add_nc_u32_e32 v6, 1, v4
	ds_load_b32 v5, v5 offset:16384
	s_waitcnt lgkmcnt(0)
	v_cmp_gt_u32_e32 vcc_lo, v5, v45
	v_dual_cndmask_b32 v2, v6, v2 :: v_dual_cndmask_b32 v3, v3, v4
	s_delay_alu instid0(VALU_DEP_1) | instskip(NEXT) | instid1(VALU_DEP_1)
	v_sub_nc_u32_e32 v4, v3, v2
	v_lshrrev_b16 v5, 15, v4
	s_delay_alu instid0(VALU_DEP_1) | instskip(NEXT) | instid1(VALU_DEP_1)
	v_add_nc_u16 v4, v4, v5
	v_ashrrev_i16 v4, 1, v4
	s_delay_alu instid0(VALU_DEP_1) | instskip(NEXT) | instid1(VALU_DEP_1)
	v_bfe_i32 v4, v4, 0, 16
	v_add_nc_u32_e32 v4, v2, v4
	s_delay_alu instid0(VALU_DEP_1) | instskip(NEXT) | instid1(VALU_DEP_1)
	v_min_i32_e32 v4, 0x7ff, v4
	v_lshlrev_b32_e32 v5, 2, v4
	v_add_nc_u32_e32 v6, 1, v4
	;; [unrolled: 17-line block ×7, first 2 shown]
	ds_load_b32 v5, v5 offset:16384
	s_waitcnt lgkmcnt(0)
	v_cmp_gt_u32_e32 vcc_lo, v5, v45
	v_dual_cndmask_b32 v2, v6, v2 :: v_dual_cndmask_b32 v3, v3, v4
	s_delay_alu instid0(VALU_DEP_1) | instskip(NEXT) | instid1(VALU_DEP_1)
	v_sub_nc_u32_e32 v4, v3, v2
	v_lshrrev_b32_e32 v5, 31, v4
	s_delay_alu instid0(VALU_DEP_1) | instskip(NEXT) | instid1(VALU_DEP_1)
	v_add_nc_u32_e32 v4, v4, v5
	v_ashrrev_i32_e32 v4, 1, v4
	s_delay_alu instid0(VALU_DEP_1) | instskip(NEXT) | instid1(VALU_DEP_1)
	v_add_nc_u32_e32 v4, v4, v2
	v_min_i32_e32 v4, 0x7ff, v4
	s_delay_alu instid0(VALU_DEP_1)
	v_lshlrev_b32_e32 v5, 2, v4
	v_add_nc_u32_e32 v6, 1, v4
	ds_load_b32 v5, v5 offset:16384
	s_waitcnt lgkmcnt(0)
	v_cmp_gt_u32_e32 vcc_lo, v5, v45
	v_dual_cndmask_b32 v2, v6, v2 :: v_dual_cndmask_b32 v3, v3, v4
	s_delay_alu instid0(VALU_DEP_1) | instskip(NEXT) | instid1(VALU_DEP_1)
	v_sub_nc_u32_e32 v3, v3, v2
	v_lshrrev_b32_e32 v4, 31, v3
	s_delay_alu instid0(VALU_DEP_1) | instskip(NEXT) | instid1(VALU_DEP_1)
	v_add_nc_u32_e32 v3, v3, v4
	v_ashrrev_i32_e32 v3, 1, v3
	s_delay_alu instid0(VALU_DEP_1) | instskip(NEXT) | instid1(VALU_DEP_1)
	v_add_nc_u32_e32 v3, v3, v2
	v_min_i32_e32 v3, 0x7ff, v3
	s_delay_alu instid0(VALU_DEP_1)
	v_lshlrev_b32_e32 v4, 2, v3
	v_add_nc_u32_e32 v3, 1, v3
	ds_load_b32 v4, v4 offset:16384
	s_waitcnt lgkmcnt(0)
	v_cmp_gt_u32_e32 vcc_lo, v4, v45
	v_cndmask_b32_e32 v46, v3, v2, vcc_lo
	s_delay_alu instid0(VALU_DEP_1) | instskip(SKIP_1) | instid1(VALU_DEP_2)
	v_lshlrev_b32_e32 v4, 2, v46
	v_lshl_add_u32 v5, v46, 3, -8
	v_add_nc_u32_e32 v2, 0x3ffc, v4
	ds_load_2addr_b32 v[2:3], v2 offset1:1
	ds_load_b64 v[9:10], v5
	v_add_nc_u32_e32 v5, 1, v45
	s_waitcnt lgkmcnt(1)
	s_delay_alu instid0(VALU_DEP_1)
	v_cmp_eq_u32_e32 vcc_lo, v5, v3
	s_waitcnt lgkmcnt(0)
	v_mov_b32_e32 v12, v10
	v_mov_b32_e32 v5, v2
	;; [unrolled: 1-line block ×3, first 2 shown]
	s_and_saveexec_b32 s0, vcc_lo
	s_cbranch_execz .LBB16_11
; %bb.10:                               ;   in Loop: Header=BB16_9 Depth=1
	v_lshlrev_b32_e32 v5, 3, v46
	v_add_nc_u32_e32 v46, 1, v46
	ds_load_b32 v4, v4 offset:16388
	ds_load_b64 v[11:12], v5
	v_mov_b32_e32 v5, v3
	s_waitcnt lgkmcnt(1)
	v_mov_b32_e32 v3, v4
.LBB16_11:                              ;   in Loop: Header=BB16_9 Depth=1
	s_or_b32 exec_lo, exec_lo, s0
	s_delay_alu instid0(VALU_DEP_2) | instskip(SKIP_3) | instid1(VALU_DEP_3)
	v_sub_nc_u32_e32 v4, 0, v5
	s_waitcnt lgkmcnt(0)
	v_dual_mov_b32 v16, v12 :: v_dual_add_nc_u32 v5, 2, v45
	v_mov_b32_e32 v15, v11
	v_add_co_u32 v4, vcc_lo, v45, v4
	s_delay_alu instid0(VALU_DEP_3) | instskip(SKIP_1) | instid1(VALU_DEP_3)
	v_cmp_eq_u32_e32 vcc_lo, v5, v3
	v_mov_b32_e32 v6, v5
	v_mov_b32_e32 v5, v4
	s_and_saveexec_b32 s0, vcc_lo
	s_cbranch_execz .LBB16_13
; %bb.12:                               ;   in Loop: Header=BB16_9 Depth=1
	v_add_nc_u32_e32 v6, 1, v46
	v_lshlrev_b32_e32 v7, 3, v46
	v_sub_nc_u32_e32 v3, 0, v3
	s_delay_alu instid0(VALU_DEP_3)
	v_lshlrev_b32_e32 v5, 2, v6
	ds_load_b32 v8, v5 offset:16384
	ds_load_b64 v[15:16], v7
	v_add_co_u32 v5, vcc_lo, v45, v3
	s_waitcnt lgkmcnt(1)
	v_dual_mov_b32 v3, v8 :: v_dual_mov_b32 v46, v6
.LBB16_13:                              ;   in Loop: Header=BB16_9 Depth=1
	s_or_b32 exec_lo, exec_lo, s0
	v_dual_mov_b32 v7, v6 :: v_dual_add_nc_u32 v8, 3, v45
	s_waitcnt lgkmcnt(0)
	v_dual_mov_b32 v6, v5 :: v_dual_mov_b32 v21, v16
	v_mov_b32_e32 v20, v15
	s_mov_b32 s0, exec_lo
	v_cmpx_eq_u32_e64 v8, v3
	s_cbranch_execz .LBB16_15
; %bb.14:                               ;   in Loop: Header=BB16_9 Depth=1
	v_lshl_add_u32 v3, v46, 2, 0x4000
	ds_load_2addr_b32 v[6:7], v3 offset1:1
	v_lshlrev_b32_e32 v3, 3, v46
	v_add_nc_u32_e32 v46, 1, v46
	ds_load_b64 v[20:21], v3
	s_waitcnt lgkmcnt(1)
	v_sub_nc_u32_e32 v3, 0, v6
	s_delay_alu instid0(VALU_DEP_1)
	v_add_co_u32 v6, vcc_lo, v45, v3
	v_mov_b32_e32 v3, v7
.LBB16_15:                              ;   in Loop: Header=BB16_9 Depth=1
	s_or_b32 exec_lo, exec_lo, s0
	v_dual_mov_b32 v8, v7 :: v_dual_add_nc_u32 v13, 4, v45
	s_waitcnt lgkmcnt(0)
	v_mov_b32_e32 v25, v21
	v_dual_mov_b32 v7, v6 :: v_dual_mov_b32 v24, v20
	s_mov_b32 s0, exec_lo
	v_cmpx_eq_u32_e64 v13, v3
	s_cbranch_execz .LBB16_17
; %bb.16:                               ;   in Loop: Header=BB16_9 Depth=1
	v_lshl_add_u32 v3, v46, 2, 0x4000
	ds_load_2addr_b32 v[7:8], v3 offset1:1
	v_lshlrev_b32_e32 v3, 3, v46
	v_add_nc_u32_e32 v46, 1, v46
	ds_load_b64 v[24:25], v3
	s_waitcnt lgkmcnt(1)
	v_sub_nc_u32_e32 v3, 0, v7
	s_delay_alu instid0(VALU_DEP_1)
	v_add_co_u32 v7, vcc_lo, v45, v3
	v_mov_b32_e32 v3, v8
.LBB16_17:                              ;   in Loop: Header=BB16_9 Depth=1
	s_or_b32 exec_lo, exec_lo, s0
	s_waitcnt lgkmcnt(0)
	v_dual_mov_b32 v14, v8 :: v_dual_mov_b32 v27, v25
	v_dual_mov_b32 v13, v7 :: v_dual_add_nc_u32 v18, 5, v45
	v_mov_b32_e32 v26, v24
	s_mov_b32 s0, exec_lo
	s_delay_alu instid0(VALU_DEP_2)
	v_cmpx_eq_u32_e64 v18, v3
	s_cbranch_execz .LBB16_19
; %bb.18:                               ;   in Loop: Header=BB16_9 Depth=1
	v_lshl_add_u32 v3, v46, 2, 0x4000
	ds_load_2addr_b32 v[13:14], v3 offset1:1
	v_lshlrev_b32_e32 v3, 3, v46
	v_add_nc_u32_e32 v46, 1, v46
	ds_load_b64 v[26:27], v3
	s_waitcnt lgkmcnt(1)
	v_sub_nc_u32_e32 v3, 0, v13
	s_delay_alu instid0(VALU_DEP_1)
	v_add_co_u32 v13, vcc_lo, v45, v3
	v_mov_b32_e32 v3, v14
.LBB16_19:                              ;   in Loop: Header=BB16_9 Depth=1
	s_or_b32 exec_lo, exec_lo, s0
	v_dual_mov_b32 v19, v14 :: v_dual_add_nc_u32 v8, 6, v45
	s_waitcnt lgkmcnt(0)
	v_dual_mov_b32 v18, v13 :: v_dual_mov_b32 v29, v27
	v_mov_b32_e32 v28, v26
	s_mov_b32 s0, exec_lo
	v_cmpx_eq_u32_e64 v8, v3
	s_cbranch_execz .LBB16_21
; %bb.20:                               ;   in Loop: Header=BB16_9 Depth=1
	v_lshl_add_u32 v3, v46, 2, 0x4000
	ds_load_2addr_b32 v[18:19], v3 offset1:1
	v_lshlrev_b32_e32 v3, 3, v46
	v_add_nc_u32_e32 v46, 1, v46
	ds_load_b64 v[28:29], v3
	s_waitcnt lgkmcnt(1)
	v_sub_nc_u32_e32 v3, 0, v18
	s_delay_alu instid0(VALU_DEP_1)
	v_add_co_u32 v18, vcc_lo, v45, v3
	v_mov_b32_e32 v3, v19
.LBB16_21:                              ;   in Loop: Header=BB16_9 Depth=1
	s_or_b32 exec_lo, exec_lo, s0
	v_dual_mov_b32 v23, v19 :: v_dual_add_nc_u32 v8, 7, v45
	s_waitcnt lgkmcnt(0)
	v_dual_mov_b32 v22, v18 :: v_dual_mov_b32 v31, v29
	v_mov_b32_e32 v30, v28
	s_mov_b32 s0, exec_lo
	v_cmpx_eq_u32_e64 v8, v3
	s_cbranch_execz .LBB16_23
; %bb.22:                               ;   in Loop: Header=BB16_9 Depth=1
	v_lshlrev_b32_e32 v3, 2, v46
	v_lshlrev_b32_e32 v8, 3, v46
	ds_load_b32 v3, v3 offset:16384
	ds_load_b64 v[30:31], v8
	s_waitcnt lgkmcnt(1)
	v_sub_nc_u32_e32 v3, 0, v3
	s_delay_alu instid0(VALU_DEP_1)
	v_add_co_u32 v22, vcc_lo, v45, v3
.LBB16_23:                              ;   in Loop: Header=BB16_9 Depth=1
	s_or_b32 exec_lo, exec_lo, s0
	s_min_u32 s6, s11, 0x800
	s_delay_alu instid0(SALU_CYCLE_1)
	v_cmp_gt_u32_e32 vcc_lo, s6, v17
	s_and_saveexec_b32 s0, vcc_lo
	s_cbranch_execnz .LBB16_40
; %bb.24:                               ;   in Loop: Header=BB16_9 Depth=1
	s_or_b32 exec_lo, exec_lo, s0
	v_cmp_gt_u32_e64 s0, s6, v36
	s_delay_alu instid0(VALU_DEP_1)
	s_and_saveexec_b32 s1, s0
	s_cbranch_execnz .LBB16_41
.LBB16_25:                              ;   in Loop: Header=BB16_9 Depth=1
	s_or_b32 exec_lo, exec_lo, s1
	v_cmp_gt_u32_e64 s1, s6, v37
	s_delay_alu instid0(VALU_DEP_1)
	s_and_saveexec_b32 s2, s1
	s_cbranch_execnz .LBB16_42
.LBB16_26:                              ;   in Loop: Header=BB16_9 Depth=1
	s_or_b32 exec_lo, exec_lo, s2
	v_cmp_gt_u32_e64 s2, s6, v38
	s_delay_alu instid0(VALU_DEP_1)
	s_and_saveexec_b32 s3, s2
	s_cbranch_execnz .LBB16_43
.LBB16_27:                              ;   in Loop: Header=BB16_9 Depth=1
	s_or_b32 exec_lo, exec_lo, s3
	v_cmp_gt_u32_e64 s3, s6, v39
	s_delay_alu instid0(VALU_DEP_1)
	s_and_saveexec_b32 s4, s3
	s_cbranch_execnz .LBB16_44
.LBB16_28:                              ;   in Loop: Header=BB16_9 Depth=1
	s_or_b32 exec_lo, exec_lo, s4
	v_cmp_gt_u32_e64 s4, s6, v40
	s_delay_alu instid0(VALU_DEP_1)
	s_and_saveexec_b32 s5, s4
	s_cbranch_execnz .LBB16_45
.LBB16_29:                              ;   in Loop: Header=BB16_9 Depth=1
	s_or_b32 exec_lo, exec_lo, s5
	v_cmp_gt_u32_e64 s5, s6, v41
	s_delay_alu instid0(VALU_DEP_1)
	s_and_saveexec_b32 s7, s5
	s_cbranch_execnz .LBB16_46
.LBB16_30:                              ;   in Loop: Header=BB16_9 Depth=1
	s_or_b32 exec_lo, exec_lo, s7
	v_cmp_gt_u32_e64 s6, s6, v42
	s_delay_alu instid0(VALU_DEP_1)
	s_and_saveexec_b32 s7, s6
	s_cbranch_execz .LBB16_32
.LBB16_31:                              ;   in Loop: Header=BB16_9 Depth=1
	s_waitcnt lgkmcnt(0)
	global_store_b64 v[0:1], v[30:31], off
.LBB16_32:                              ;   in Loop: Header=BB16_9 Depth=1
	s_or_b32 exec_lo, exec_lo, s7
	v_add_co_u32 v8, s7, v33, s8
	s_delay_alu instid0(VALU_DEP_1)
	v_add_co_ci_u32_e64 v9, s7, s9, v34, s7
	s_and_saveexec_b32 s7, vcc_lo
	s_cbranch_execnz .LBB16_47
; %bb.33:                               ;   in Loop: Header=BB16_9 Depth=1
	s_or_b32 exec_lo, exec_lo, s7
	s_and_saveexec_b32 s7, s0
	s_cbranch_execnz .LBB16_48
.LBB16_34:                              ;   in Loop: Header=BB16_9 Depth=1
	s_or_b32 exec_lo, exec_lo, s7
	s_and_saveexec_b32 s0, s1
	s_cbranch_execnz .LBB16_49
.LBB16_35:                              ;   in Loop: Header=BB16_9 Depth=1
	s_or_b32 exec_lo, exec_lo, s0
	s_and_saveexec_b32 s0, s2
	s_cbranch_execnz .LBB16_50
.LBB16_36:                              ;   in Loop: Header=BB16_9 Depth=1
	s_or_b32 exec_lo, exec_lo, s0
	s_and_saveexec_b32 s0, s3
	s_cbranch_execnz .LBB16_51
.LBB16_37:                              ;   in Loop: Header=BB16_9 Depth=1
	s_or_b32 exec_lo, exec_lo, s0
	s_and_saveexec_b32 s0, s4
	s_cbranch_execnz .LBB16_52
.LBB16_38:                              ;   in Loop: Header=BB16_9 Depth=1
	s_or_b32 exec_lo, exec_lo, s0
	s_and_saveexec_b32 s0, s5
	s_cbranch_execnz .LBB16_53
.LBB16_39:                              ;   in Loop: Header=BB16_9 Depth=1
	s_or_b32 exec_lo, exec_lo, s0
	s_and_saveexec_b32 s0, s6
	s_cbranch_execz .LBB16_8
	s_branch .LBB16_54
.LBB16_40:                              ;   in Loop: Header=BB16_9 Depth=1
	global_store_b64 v[0:1], v[9:10], off offset:-56
	s_or_b32 exec_lo, exec_lo, s0
	v_cmp_gt_u32_e64 s0, s6, v36
	s_delay_alu instid0(VALU_DEP_1)
	s_and_saveexec_b32 s1, s0
	s_cbranch_execz .LBB16_25
.LBB16_41:                              ;   in Loop: Header=BB16_9 Depth=1
	global_store_b64 v[0:1], v[11:12], off offset:-48
	s_or_b32 exec_lo, exec_lo, s1
	v_cmp_gt_u32_e64 s1, s6, v37
	s_delay_alu instid0(VALU_DEP_1)
	s_and_saveexec_b32 s2, s1
	s_cbranch_execz .LBB16_26
.LBB16_42:                              ;   in Loop: Header=BB16_9 Depth=1
	global_store_b64 v[0:1], v[15:16], off offset:-40
	s_or_b32 exec_lo, exec_lo, s2
	v_cmp_gt_u32_e64 s2, s6, v38
	s_delay_alu instid0(VALU_DEP_1)
	s_and_saveexec_b32 s3, s2
	s_cbranch_execz .LBB16_27
.LBB16_43:                              ;   in Loop: Header=BB16_9 Depth=1
	global_store_b64 v[0:1], v[20:21], off offset:-32
	s_or_b32 exec_lo, exec_lo, s3
	v_cmp_gt_u32_e64 s3, s6, v39
	s_delay_alu instid0(VALU_DEP_1)
	s_and_saveexec_b32 s4, s3
	s_cbranch_execz .LBB16_28
.LBB16_44:                              ;   in Loop: Header=BB16_9 Depth=1
	global_store_b64 v[0:1], v[24:25], off offset:-24
	s_or_b32 exec_lo, exec_lo, s4
	v_cmp_gt_u32_e64 s4, s6, v40
	s_delay_alu instid0(VALU_DEP_1)
	s_and_saveexec_b32 s5, s4
	s_cbranch_execz .LBB16_29
.LBB16_45:                              ;   in Loop: Header=BB16_9 Depth=1
	global_store_b64 v[0:1], v[26:27], off offset:-16
	s_or_b32 exec_lo, exec_lo, s5
	v_cmp_gt_u32_e64 s5, s6, v41
	s_delay_alu instid0(VALU_DEP_1)
	s_and_saveexec_b32 s7, s5
	s_cbranch_execz .LBB16_30
.LBB16_46:                              ;   in Loop: Header=BB16_9 Depth=1
	global_store_b64 v[0:1], v[28:29], off offset:-8
	s_or_b32 exec_lo, exec_lo, s7
	v_cmp_gt_u32_e64 s6, s6, v42
	s_delay_alu instid0(VALU_DEP_1)
	s_and_saveexec_b32 s7, s6
	s_cbranch_execnz .LBB16_31
	s_branch .LBB16_32
.LBB16_47:                              ;   in Loop: Header=BB16_9 Depth=1
	v_sub_nc_u32_e32 v2, v32, v2
	global_store_b8 v[8:9], v2, off
	s_or_b32 exec_lo, exec_lo, s7
	s_and_saveexec_b32 s7, s0
	s_cbranch_execz .LBB16_34
.LBB16_48:                              ;   in Loop: Header=BB16_9 Depth=1
	v_add_nc_u16 v2, v4, 1
	global_store_b8 v[8:9], v2, off offset:1
	s_or_b32 exec_lo, exec_lo, s7
	s_and_saveexec_b32 s0, s1
	s_cbranch_execz .LBB16_35
.LBB16_49:                              ;   in Loop: Header=BB16_9 Depth=1
	v_add_nc_u16 v2, v5, 2
	global_store_b8 v[8:9], v2, off offset:2
	s_or_b32 exec_lo, exec_lo, s0
	s_and_saveexec_b32 s0, s2
	s_cbranch_execz .LBB16_36
.LBB16_50:                              ;   in Loop: Header=BB16_9 Depth=1
	v_add_nc_u16 v2, v6, 3
	global_store_b8 v[8:9], v2, off offset:3
	s_or_b32 exec_lo, exec_lo, s0
	s_and_saveexec_b32 s0, s3
	s_cbranch_execz .LBB16_37
.LBB16_51:                              ;   in Loop: Header=BB16_9 Depth=1
	v_add_nc_u16 v2, v7, 4
	global_store_b8 v[8:9], v2, off offset:4
	s_or_b32 exec_lo, exec_lo, s0
	s_and_saveexec_b32 s0, s4
	s_cbranch_execz .LBB16_38
.LBB16_52:                              ;   in Loop: Header=BB16_9 Depth=1
	v_add_nc_u16 v2, v13, 5
	global_store_b8 v[8:9], v2, off offset:5
	s_or_b32 exec_lo, exec_lo, s0
	s_and_saveexec_b32 s0, s5
	s_cbranch_execz .LBB16_39
.LBB16_53:                              ;   in Loop: Header=BB16_9 Depth=1
	v_add_nc_u16 v2, v18, 6
	global_store_b8 v[8:9], v2, off offset:6
	s_or_b32 exec_lo, exec_lo, s0
	s_and_saveexec_b32 s0, s6
	s_cbranch_execz .LBB16_8
.LBB16_54:                              ;   in Loop: Header=BB16_9 Depth=1
	v_add_nc_u16 v2, v22, 7
	global_store_b8 v[8:9], v2, off offset:7
	s_branch .LBB16_8
.LBB16_55:
	s_nop 0
	s_sendmsg sendmsg(MSG_DEALLOC_VGPRS)
	s_endpgm
	.section	.rodata,"a",@progbits
	.p2align	6, 0x0
	.amdhsa_kernel _Z30block_run_length_decode_kernelIdcLj256ELj8ELj8EEvPKT_PKT0_PS0_PS3_
		.amdhsa_group_segment_fixed_size 24576
		.amdhsa_private_segment_fixed_size 0
		.amdhsa_kernarg_size 32
		.amdhsa_user_sgpr_count 15
		.amdhsa_user_sgpr_dispatch_ptr 0
		.amdhsa_user_sgpr_queue_ptr 0
		.amdhsa_user_sgpr_kernarg_segment_ptr 1
		.amdhsa_user_sgpr_dispatch_id 0
		.amdhsa_user_sgpr_private_segment_size 0
		.amdhsa_wavefront_size32 1
		.amdhsa_uses_dynamic_stack 0
		.amdhsa_enable_private_segment 0
		.amdhsa_system_sgpr_workgroup_id_x 1
		.amdhsa_system_sgpr_workgroup_id_y 0
		.amdhsa_system_sgpr_workgroup_id_z 0
		.amdhsa_system_sgpr_workgroup_info 0
		.amdhsa_system_vgpr_workitem_id 0
		.amdhsa_next_free_vgpr 47
		.amdhsa_next_free_sgpr 16
		.amdhsa_reserve_vcc 1
		.amdhsa_float_round_mode_32 0
		.amdhsa_float_round_mode_16_64 0
		.amdhsa_float_denorm_mode_32 3
		.amdhsa_float_denorm_mode_16_64 3
		.amdhsa_dx10_clamp 1
		.amdhsa_ieee_mode 1
		.amdhsa_fp16_overflow 0
		.amdhsa_workgroup_processor_mode 1
		.amdhsa_memory_ordered 1
		.amdhsa_forward_progress 0
		.amdhsa_shared_vgpr_count 0
		.amdhsa_exception_fp_ieee_invalid_op 0
		.amdhsa_exception_fp_denorm_src 0
		.amdhsa_exception_fp_ieee_div_zero 0
		.amdhsa_exception_fp_ieee_overflow 0
		.amdhsa_exception_fp_ieee_underflow 0
		.amdhsa_exception_fp_ieee_inexact 0
		.amdhsa_exception_int_div_zero 0
	.end_amdhsa_kernel
	.section	.text._Z30block_run_length_decode_kernelIdcLj256ELj8ELj8EEvPKT_PKT0_PS0_PS3_,"axG",@progbits,_Z30block_run_length_decode_kernelIdcLj256ELj8ELj8EEvPKT_PKT0_PS0_PS3_,comdat
.Lfunc_end16:
	.size	_Z30block_run_length_decode_kernelIdcLj256ELj8ELj8EEvPKT_PKT0_PS0_PS3_, .Lfunc_end16-_Z30block_run_length_decode_kernelIdcLj256ELj8ELj8EEvPKT_PKT0_PS0_PS3_
                                        ; -- End function
	.section	.AMDGPU.csdata,"",@progbits
; Kernel info:
; codeLenInByte = 3528
; NumSgprs: 18
; NumVgprs: 47
; ScratchSize: 0
; MemoryBound: 0
; FloatMode: 240
; IeeeMode: 1
; LDSByteSize: 24576 bytes/workgroup (compile time only)
; SGPRBlocks: 2
; VGPRBlocks: 5
; NumSGPRsForWavesPerEU: 18
; NumVGPRsForWavesPerEU: 47
; Occupancy: 10
; WaveLimiterHint : 0
; COMPUTE_PGM_RSRC2:SCRATCH_EN: 0
; COMPUTE_PGM_RSRC2:USER_SGPR: 15
; COMPUTE_PGM_RSRC2:TRAP_HANDLER: 0
; COMPUTE_PGM_RSRC2:TGID_X_EN: 1
; COMPUTE_PGM_RSRC2:TGID_Y_EN: 0
; COMPUTE_PGM_RSRC2:TGID_Z_EN: 0
; COMPUTE_PGM_RSRC2:TIDIG_COMP_CNT: 0
	.section	.text._Z30block_run_length_decode_kernelIiiLj256ELj8ELj8EEvPKT_PKT0_PS0_PS3_,"axG",@progbits,_Z30block_run_length_decode_kernelIiiLj256ELj8ELj8EEvPKT_PKT0_PS0_PS3_,comdat
	.protected	_Z30block_run_length_decode_kernelIiiLj256ELj8ELj8EEvPKT_PKT0_PS0_PS3_ ; -- Begin function _Z30block_run_length_decode_kernelIiiLj256ELj8ELj8EEvPKT_PKT0_PS0_PS3_
	.globl	_Z30block_run_length_decode_kernelIiiLj256ELj8ELj8EEvPKT_PKT0_PS0_PS3_
	.p2align	8
	.type	_Z30block_run_length_decode_kernelIiiLj256ELj8ELj8EEvPKT_PKT0_PS0_PS3_,@function
_Z30block_run_length_decode_kernelIiiLj256ELj8ELj8EEvPKT_PKT0_PS0_PS3_: ; @_Z30block_run_length_decode_kernelIiiLj256ELj8ELj8EEvPKT_PKT0_PS0_PS3_
; %bb.0:
	s_load_b256 s[4:11], s[0:1], 0x0
	v_lshlrev_b32_e32 v20, 3, v0
	v_mov_b32_e32 v18, 0
	v_or_b32_e32 v24, 31, v0
	s_mov_b32 s0, exec_lo
	s_delay_alu instid0(VALU_DEP_3) | instskip(NEXT) | instid1(VALU_DEP_1)
	v_lshl_or_b32 v17, s15, 11, v20
	v_lshlrev_b64 v[18:19], 2, v[17:18]
	s_waitcnt lgkmcnt(0)
	s_delay_alu instid0(VALU_DEP_1) | instskip(NEXT) | instid1(VALU_DEP_2)
	v_add_co_u32 v1, vcc_lo, s6, v18
	v_add_co_ci_u32_e32 v2, vcc_lo, s7, v19, vcc_lo
	v_add_co_u32 v9, vcc_lo, s4, v18
	v_add_co_ci_u32_e32 v10, vcc_lo, s5, v19, vcc_lo
	s_clause 0x1
	global_load_b128 v[13:16], v[1:2], off
	global_load_b128 v[1:4], v[1:2], off offset:16
	s_clause 0x1
	global_load_b128 v[5:8], v[9:10], off offset:16
	global_load_b128 v[9:12], v[9:10], off
	s_waitcnt vmcnt(3)
	v_add_nc_u32_e32 v21, v14, v13
	s_delay_alu instid0(VALU_DEP_1) | instskip(SKIP_1) | instid1(VALU_DEP_1)
	v_add3_u32 v21, v21, v15, v16
	s_waitcnt vmcnt(2)
	v_add3_u32 v22, v21, v1, v2
	v_mbcnt_lo_u32_b32 v21, -1, 0
	s_delay_alu instid0(VALU_DEP_2) | instskip(NEXT) | instid1(VALU_DEP_2)
	v_add3_u32 v4, v22, v3, v4
	v_and_b32_e32 v22, 15, v21
	s_delay_alu instid0(VALU_DEP_2) | instskip(NEXT) | instid1(VALU_DEP_2)
	v_mov_b32_dpp v23, v4 row_shr:1 row_mask:0xf bank_mask:0xf
	v_cmp_ne_u32_e32 vcc_lo, 0, v22
	s_delay_alu instid0(VALU_DEP_2) | instskip(SKIP_1) | instid1(VALU_DEP_2)
	v_cndmask_b32_e32 v23, 0, v23, vcc_lo
	v_cmp_lt_u32_e32 vcc_lo, 1, v22
	v_add_nc_u32_e32 v4, v23, v4
	s_delay_alu instid0(VALU_DEP_1) | instskip(NEXT) | instid1(VALU_DEP_1)
	v_mov_b32_dpp v23, v4 row_shr:2 row_mask:0xf bank_mask:0xf
	v_cndmask_b32_e32 v23, 0, v23, vcc_lo
	v_cmp_lt_u32_e32 vcc_lo, 3, v22
	s_delay_alu instid0(VALU_DEP_2) | instskip(NEXT) | instid1(VALU_DEP_1)
	v_add_nc_u32_e32 v4, v4, v23
	v_mov_b32_dpp v23, v4 row_shr:4 row_mask:0xf bank_mask:0xf
	s_delay_alu instid0(VALU_DEP_1) | instskip(SKIP_1) | instid1(VALU_DEP_2)
	v_cndmask_b32_e32 v23, 0, v23, vcc_lo
	v_cmp_lt_u32_e32 vcc_lo, 7, v22
	v_add_nc_u32_e32 v4, v4, v23
	s_delay_alu instid0(VALU_DEP_1) | instskip(NEXT) | instid1(VALU_DEP_1)
	v_mov_b32_dpp v23, v4 row_shr:8 row_mask:0xf bank_mask:0xf
	v_cndmask_b32_e32 v22, 0, v23, vcc_lo
	v_bfe_i32 v23, v21, 4, 1
	s_delay_alu instid0(VALU_DEP_2) | instskip(SKIP_4) | instid1(VALU_DEP_2)
	v_add_nc_u32_e32 v4, v4, v22
	ds_swizzle_b32 v22, v4 offset:swizzle(BROADCAST,32,15)
	s_waitcnt lgkmcnt(0)
	v_and_b32_e32 v23, v23, v22
	v_lshrrev_b32_e32 v22, 5, v0
	v_add_nc_u32_e32 v4, v4, v23
	v_cmpx_eq_u32_e64 v24, v0
	s_cbranch_execz .LBB17_2
; %bb.1:
	s_delay_alu instid0(VALU_DEP_3)
	v_lshlrev_b32_e32 v23, 2, v22
	ds_store_b32 v23, v4
.LBB17_2:
	s_or_b32 exec_lo, exec_lo, s0
	s_delay_alu instid0(SALU_CYCLE_1)
	s_mov_b32 s0, exec_lo
	s_waitcnt vmcnt(0) lgkmcnt(0)
	s_barrier
	buffer_gl0_inv
	v_cmpx_gt_u32_e32 8, v0
	s_cbranch_execz .LBB17_4
; %bb.3:
	v_and_b32_e32 v25, 7, v21
	s_delay_alu instid0(VALU_DEP_1) | instskip(SKIP_4) | instid1(VALU_DEP_1)
	v_cmp_ne_u32_e32 vcc_lo, 0, v25
	v_lshlrev_b32_e32 v23, 2, v0
	ds_load_b32 v24, v23
	s_waitcnt lgkmcnt(0)
	v_mov_b32_dpp v26, v24 row_shr:1 row_mask:0xf bank_mask:0xf
	v_cndmask_b32_e32 v26, 0, v26, vcc_lo
	v_cmp_lt_u32_e32 vcc_lo, 1, v25
	s_delay_alu instid0(VALU_DEP_2) | instskip(NEXT) | instid1(VALU_DEP_1)
	v_add_nc_u32_e32 v24, v26, v24
	v_mov_b32_dpp v26, v24 row_shr:2 row_mask:0xf bank_mask:0xf
	s_delay_alu instid0(VALU_DEP_1) | instskip(SKIP_1) | instid1(VALU_DEP_2)
	v_cndmask_b32_e32 v26, 0, v26, vcc_lo
	v_cmp_lt_u32_e32 vcc_lo, 3, v25
	v_add_nc_u32_e32 v24, v24, v26
	s_delay_alu instid0(VALU_DEP_1) | instskip(NEXT) | instid1(VALU_DEP_1)
	v_mov_b32_dpp v26, v24 row_shr:4 row_mask:0xf bank_mask:0xf
	v_cndmask_b32_e32 v25, 0, v26, vcc_lo
	s_delay_alu instid0(VALU_DEP_1)
	v_add_nc_u32_e32 v24, v24, v25
	ds_store_b32 v23, v24
.LBB17_4:
	s_or_b32 exec_lo, exec_lo, s0
	v_dual_mov_b32 v23, 0 :: v_dual_mov_b32 v24, 0
	s_mov_b32 s0, exec_lo
	s_waitcnt lgkmcnt(0)
	s_barrier
	buffer_gl0_inv
	v_cmpx_lt_u32_e32 31, v0
	s_cbranch_execz .LBB17_6
; %bb.5:
	v_lshl_add_u32 v22, v22, 2, -4
	ds_load_b32 v24, v22
.LBB17_6:
	s_or_b32 exec_lo, exec_lo, s0
	v_add_nc_u32_e32 v22, -1, v21
	s_waitcnt lgkmcnt(0)
	v_add_nc_u32_e32 v4, v24, v4
	s_mov_b32 s12, 0
	s_delay_alu instid0(VALU_DEP_2) | instskip(SKIP_3) | instid1(VALU_DEP_3)
	v_cmp_gt_i32_e32 vcc_lo, 0, v22
	v_cndmask_b32_e32 v22, v22, v21, vcc_lo
	v_cmp_eq_u32_e32 vcc_lo, 0, v21
	v_lshlrev_b32_e32 v21, 2, v20
	v_lshlrev_b32_e32 v22, 2, v22
	s_delay_alu instid0(VALU_DEP_2)
	v_add_nc_u32_e32 v25, 0x2018, v21
	ds_bpermute_b32 v4, v22, v4
	v_or_b32_e32 v22, 0x2000, v21
	s_waitcnt lgkmcnt(0)
	v_cndmask_b32_e32 v4, v4, v24, vcc_lo
	v_cmp_ne_u32_e32 vcc_lo, 0, v0
	v_add_nc_u32_e32 v24, 0x2010, v21
	s_delay_alu instid0(VALU_DEP_3) | instskip(NEXT) | instid1(VALU_DEP_1)
	v_cndmask_b32_e32 v0, 0, v4, vcc_lo
	v_add_nc_u32_e32 v4, v0, v13
	ds_load_b32 v13, v23 offset:28
	v_add_nc_u32_e32 v23, 0x2008, v21
	s_waitcnt lgkmcnt(0)
	s_barrier
	v_add_nc_u32_e32 v14, v4, v14
	buffer_gl0_inv
	ds_store_2addr_b32 v21, v9, v10 offset1:1
	ds_store_2addr_b32 v21, v11, v12 offset0:2 offset1:3
	ds_store_2addr_b32 v21, v5, v6 offset0:4 offset1:5
	ds_store_2addr_b32 v21, v7, v8 offset0:6 offset1:7
	v_add_nc_u32_e32 v15, v14, v15
	s_delay_alu instid0(VALU_DEP_1) | instskip(NEXT) | instid1(VALU_DEP_1)
	v_add_nc_u32_e32 v16, v15, v16
	v_add_nc_u32_e32 v1, v16, v1
	v_cmp_eq_u32_e32 vcc_lo, 0, v13
	v_readfirstlane_b32 s13, v13
	s_delay_alu instid0(VALU_DEP_3) | instskip(SKIP_1) | instid1(VALU_DEP_1)
	v_add_nc_u32_e32 v2, v1, v2
	s_and_b32 vcc_lo, exec_lo, vcc_lo
	v_add_nc_u32_e32 v3, v2, v3
	ds_store_2addr_b32 v22, v0, v4 offset1:1
	ds_store_2addr_b32 v23, v14, v15 offset1:1
	;; [unrolled: 1-line block ×4, first 2 shown]
	s_waitcnt lgkmcnt(0)
	s_barrier
	buffer_gl0_inv
	s_cbranch_vccnz .LBB17_55
; %bb.7:
	v_dual_mov_b32 v0, 0 :: v_dual_mov_b32 v11, 0x400
	v_or_b32_e32 v4, 1, v17
	v_or_b32_e32 v5, 2, v17
	;; [unrolled: 1-line block ×3, first 2 shown]
	ds_load_b32 v3, v0 offset:12288
	v_or_b32_e32 v7, 4, v17
	v_or_b32_e32 v8, 5, v17
	;; [unrolled: 1-line block ×4, first 2 shown]
	v_mov_b32_e32 v12, 0x200
	s_mov_b32 s14, s13
	s_branch .LBB17_9
.LBB17_8:                               ;   in Loop: Header=BB17_9 Depth=1
	s_or_b32 exec_lo, exec_lo, s0
	s_addk_i32 s12, 0x800
	s_addk_i32 s14, 0xf800
	s_add_u32 s10, s10, 0x2000
	s_addc_u32 s11, s11, 0
	s_add_u32 s8, s8, 0x2000
	s_addc_u32 s9, s9, 0
	s_cmp_lt_u32 s12, s13
	s_cbranch_scc0 .LBB17_55
.LBB17_9:                               ; =>This Inner Loop Header: Depth=1
	v_add_nc_u32_e32 v2, s12, v20
	s_waitcnt lgkmcnt(0)
	s_delay_alu instid0(VALU_DEP_1) | instskip(SKIP_2) | instid1(VALU_DEP_2)
	v_cmp_gt_u32_e32 vcc_lo, v3, v2
	v_cndmask_b32_e32 v1, 0x600, v12, vcc_lo
	v_cndmask_b32_e64 v0, 0x401, 0, vcc_lo
	v_dual_cndmask_b32 v14, 0x800, v11 :: v_dual_lshlrev_b32 v13, 2, v1
	v_or_b32_e32 v15, 1, v1
	ds_load_b32 v13, v13 offset:8192
	s_waitcnt lgkmcnt(0)
	v_cmp_gt_u32_e32 vcc_lo, v13, v2
	v_dual_cndmask_b32 v0, v15, v0 :: v_dual_cndmask_b32 v1, v14, v1
	s_delay_alu instid0(VALU_DEP_1) | instskip(NEXT) | instid1(VALU_DEP_1)
	v_sub_nc_u32_e32 v13, v1, v0
	v_lshrrev_b16 v14, 15, v13
	s_delay_alu instid0(VALU_DEP_1) | instskip(NEXT) | instid1(VALU_DEP_1)
	v_add_nc_u16 v13, v13, v14
	v_ashrrev_i16 v13, 1, v13
	s_delay_alu instid0(VALU_DEP_1) | instskip(NEXT) | instid1(VALU_DEP_1)
	v_bfe_i32 v13, v13, 0, 16
	v_add_nc_u32_e32 v13, v0, v13
	s_delay_alu instid0(VALU_DEP_1) | instskip(NEXT) | instid1(VALU_DEP_1)
	v_min_i32_e32 v13, 0x7ff, v13
	v_lshlrev_b32_e32 v14, 2, v13
	v_add_nc_u32_e32 v15, 1, v13
	ds_load_b32 v14, v14 offset:8192
	s_waitcnt lgkmcnt(0)
	v_cmp_gt_u32_e32 vcc_lo, v14, v2
	v_dual_cndmask_b32 v0, v15, v0 :: v_dual_cndmask_b32 v1, v1, v13
	s_delay_alu instid0(VALU_DEP_1) | instskip(NEXT) | instid1(VALU_DEP_1)
	v_sub_nc_u32_e32 v13, v1, v0
	v_lshrrev_b16 v14, 15, v13
	s_delay_alu instid0(VALU_DEP_1) | instskip(NEXT) | instid1(VALU_DEP_1)
	v_add_nc_u16 v13, v13, v14
	v_ashrrev_i16 v13, 1, v13
	s_delay_alu instid0(VALU_DEP_1) | instskip(NEXT) | instid1(VALU_DEP_1)
	v_bfe_i32 v13, v13, 0, 16
	v_add_nc_u32_e32 v13, v0, v13
	s_delay_alu instid0(VALU_DEP_1) | instskip(NEXT) | instid1(VALU_DEP_1)
	v_min_i32_e32 v13, 0x7ff, v13
	v_lshlrev_b32_e32 v14, 2, v13
	v_add_nc_u32_e32 v15, 1, v13
	;; [unrolled: 17-line block ×8, first 2 shown]
	ds_load_b32 v14, v14 offset:8192
	s_waitcnt lgkmcnt(0)
	v_cmp_gt_u32_e32 vcc_lo, v14, v2
	v_dual_cndmask_b32 v0, v15, v0 :: v_dual_cndmask_b32 v1, v1, v13
	s_delay_alu instid0(VALU_DEP_1) | instskip(NEXT) | instid1(VALU_DEP_1)
	v_sub_nc_u32_e32 v13, v1, v0
	v_lshrrev_b32_e32 v14, 31, v13
	s_delay_alu instid0(VALU_DEP_1) | instskip(NEXT) | instid1(VALU_DEP_1)
	v_add_nc_u32_e32 v13, v13, v14
	v_ashrrev_i32_e32 v13, 1, v13
	s_delay_alu instid0(VALU_DEP_1) | instskip(NEXT) | instid1(VALU_DEP_1)
	v_add_nc_u32_e32 v13, v13, v0
	v_min_i32_e32 v13, 0x7ff, v13
	s_delay_alu instid0(VALU_DEP_1)
	v_lshlrev_b32_e32 v14, 2, v13
	v_add_nc_u32_e32 v15, 1, v13
	ds_load_b32 v14, v14 offset:8192
	s_waitcnt lgkmcnt(0)
	v_cmp_gt_u32_e32 vcc_lo, v14, v2
	v_dual_cndmask_b32 v0, v15, v0 :: v_dual_cndmask_b32 v1, v1, v13
	s_delay_alu instid0(VALU_DEP_1) | instskip(NEXT) | instid1(VALU_DEP_1)
	v_sub_nc_u32_e32 v1, v1, v0
	v_lshrrev_b32_e32 v13, 31, v1
	s_delay_alu instid0(VALU_DEP_1) | instskip(NEXT) | instid1(VALU_DEP_1)
	v_add_nc_u32_e32 v1, v1, v13
	v_ashrrev_i32_e32 v1, 1, v1
	s_delay_alu instid0(VALU_DEP_1) | instskip(NEXT) | instid1(VALU_DEP_1)
	v_add_nc_u32_e32 v1, v1, v0
	v_min_i32_e32 v1, 0x7ff, v1
	s_delay_alu instid0(VALU_DEP_1)
	v_lshlrev_b32_e32 v13, 2, v1
	v_add_nc_u32_e32 v1, 1, v1
	ds_load_b32 v13, v13 offset:8192
	s_waitcnt lgkmcnt(0)
	v_cmp_gt_u32_e32 vcc_lo, v13, v2
	v_cndmask_b32_e32 v25, v1, v0, vcc_lo
	s_delay_alu instid0(VALU_DEP_1) | instskip(NEXT) | instid1(VALU_DEP_1)
	v_lshlrev_b32_e32 v15, 2, v25
	v_add_nc_u32_e32 v0, 0x1ffc, v15
	v_add_nc_u32_e32 v13, -4, v15
	ds_load_2addr_b32 v[0:1], v0 offset1:1
	ds_load_b32 v22, v13
	v_add_nc_u32_e32 v13, 1, v2
	s_waitcnt lgkmcnt(1)
	v_sub_nc_u32_e32 v14, v2, v0
	s_delay_alu instid0(VALU_DEP_2) | instskip(SKIP_2) | instid1(VALU_DEP_3)
	v_cmp_eq_u32_e32 vcc_lo, v13, v1
	s_waitcnt lgkmcnt(0)
	v_mov_b32_e32 v23, v22
	v_mov_b32_e32 v13, v14
	s_and_saveexec_b32 s0, vcc_lo
	s_cbranch_execz .LBB17_11
; %bb.10:                               ;   in Loop: Header=BB17_9 Depth=1
	ds_load_b32 v0, v15 offset:8196
	ds_load_b32 v23, v15
	v_add_nc_u32_e32 v25, 1, v25
	v_sub_nc_u32_e32 v13, v2, v1
	s_waitcnt lgkmcnt(1)
	v_mov_b32_e32 v1, v0
.LBB17_11:                              ;   in Loop: Header=BB17_9 Depth=1
	s_or_b32 exec_lo, exec_lo, s0
	s_delay_alu instid0(VALU_DEP_1) | instskip(SKIP_3) | instid1(VALU_DEP_2)
	v_dual_mov_b32 v15, v13 :: v_dual_add_nc_u32 v0, 2, v2
	s_waitcnt lgkmcnt(0)
	v_mov_b32_e32 v26, v23
	s_mov_b32 s0, exec_lo
	v_cmpx_eq_u32_e64 v0, v1
	s_cbranch_execz .LBB17_13
; %bb.12:                               ;   in Loop: Header=BB17_9 Depth=1
	v_lshlrev_b32_e32 v0, 2, v25
	v_add_nc_u32_e32 v25, 1, v25
	v_sub_nc_u32_e32 v15, v2, v1
	ds_load_b32 v16, v0 offset:8196
	ds_load_b32 v26, v0
	s_waitcnt lgkmcnt(1)
	v_mov_b32_e32 v1, v16
.LBB17_13:                              ;   in Loop: Header=BB17_9 Depth=1
	s_or_b32 exec_lo, exec_lo, s0
	v_add_nc_u32_e32 v0, 3, v2
	v_mov_b32_e32 v16, v15
	s_waitcnt lgkmcnt(0)
	v_mov_b32_e32 v28, v26
	s_mov_b32 s0, exec_lo
	v_cmpx_eq_u32_e64 v0, v1
	s_cbranch_execz .LBB17_15
; %bb.14:                               ;   in Loop: Header=BB17_9 Depth=1
	v_lshlrev_b32_e32 v16, 2, v25
	v_add_nc_u32_e32 v25, 1, v25
	s_delay_alu instid0(VALU_DEP_2)
	v_add_nc_u32_e32 v0, 0x2000, v16
	ds_load_2addr_b32 v[0:1], v0 offset1:1
	ds_load_b32 v28, v16
	s_waitcnt lgkmcnt(1)
	v_sub_nc_u32_e32 v16, v2, v0
.LBB17_15:                              ;   in Loop: Header=BB17_9 Depth=1
	s_or_b32 exec_lo, exec_lo, s0
	s_delay_alu instid0(VALU_DEP_1) | instskip(SKIP_3) | instid1(VALU_DEP_2)
	v_dual_mov_b32 v21, v16 :: v_dual_add_nc_u32 v0, 4, v2
	s_waitcnt lgkmcnt(0)
	v_mov_b32_e32 v30, v28
	s_mov_b32 s0, exec_lo
	v_cmpx_eq_u32_e64 v0, v1
	s_cbranch_execz .LBB17_17
; %bb.16:                               ;   in Loop: Header=BB17_9 Depth=1
	v_lshlrev_b32_e32 v21, 2, v25
	v_add_nc_u32_e32 v25, 1, v25
	s_delay_alu instid0(VALU_DEP_2)
	v_add_nc_u32_e32 v0, 0x2000, v21
	ds_load_2addr_b32 v[0:1], v0 offset1:1
	ds_load_b32 v30, v21
	s_waitcnt lgkmcnt(1)
	v_sub_nc_u32_e32 v21, v2, v0
.LBB17_17:                              ;   in Loop: Header=BB17_9 Depth=1
	s_or_b32 exec_lo, exec_lo, s0
	s_waitcnt lgkmcnt(0)
	v_dual_mov_b32 v31, v30 :: v_dual_add_nc_u32 v0, 5, v2
	s_delay_alu instid0(VALU_DEP_2) | instskip(SKIP_1) | instid1(VALU_DEP_2)
	v_mov_b32_e32 v24, v21
	s_mov_b32 s0, exec_lo
	v_cmpx_eq_u32_e64 v0, v1
	s_cbranch_execz .LBB17_19
; %bb.18:                               ;   in Loop: Header=BB17_9 Depth=1
	v_lshlrev_b32_e32 v24, 2, v25
	v_add_nc_u32_e32 v25, 1, v25
	s_delay_alu instid0(VALU_DEP_2)
	v_add_nc_u32_e32 v0, 0x2000, v24
	ds_load_2addr_b32 v[0:1], v0 offset1:1
	ds_load_b32 v31, v24
	s_waitcnt lgkmcnt(1)
	v_sub_nc_u32_e32 v24, v2, v0
.LBB17_19:                              ;   in Loop: Header=BB17_9 Depth=1
	s_or_b32 exec_lo, exec_lo, s0
	s_delay_alu instid0(VALU_DEP_1) | instskip(SKIP_3) | instid1(VALU_DEP_2)
	v_dual_mov_b32 v27, v24 :: v_dual_add_nc_u32 v0, 6, v2
	s_waitcnt lgkmcnt(0)
	v_mov_b32_e32 v32, v31
	s_mov_b32 s0, exec_lo
	v_cmpx_eq_u32_e64 v0, v1
	s_cbranch_execz .LBB17_21
; %bb.20:                               ;   in Loop: Header=BB17_9 Depth=1
	v_lshlrev_b32_e32 v27, 2, v25
	v_add_nc_u32_e32 v25, 1, v25
	s_delay_alu instid0(VALU_DEP_2)
	v_add_nc_u32_e32 v0, 0x2000, v27
	ds_load_2addr_b32 v[0:1], v0 offset1:1
	ds_load_b32 v32, v27
	s_waitcnt lgkmcnt(1)
	v_sub_nc_u32_e32 v27, v2, v0
.LBB17_21:                              ;   in Loop: Header=BB17_9 Depth=1
	s_or_b32 exec_lo, exec_lo, s0
	s_delay_alu instid0(VALU_DEP_1) | instskip(NEXT) | instid1(VALU_DEP_1)
	v_dual_mov_b32 v29, v27 :: v_dual_add_nc_u32 v0, 7, v2
	v_cmp_eq_u32_e32 vcc_lo, v0, v1
	s_waitcnt lgkmcnt(0)
	v_mov_b32_e32 v0, v32
	s_and_saveexec_b32 s0, vcc_lo
	s_cbranch_execz .LBB17_23
; %bb.22:                               ;   in Loop: Header=BB17_9 Depth=1
	v_lshlrev_b32_e32 v0, 2, v25
	ds_load_2addr_stride64_b32 v[0:1], v0 offset1:32
	s_waitcnt lgkmcnt(0)
	v_sub_nc_u32_e32 v29, v2, v1
.LBB17_23:                              ;   in Loop: Header=BB17_9 Depth=1
	s_or_b32 exec_lo, exec_lo, s0
	v_add_co_u32 v1, vcc_lo, s8, v18
	s_min_u32 s6, s14, 0x800
	v_add_co_ci_u32_e32 v2, vcc_lo, s9, v19, vcc_lo
	v_cmp_gt_u32_e32 vcc_lo, s6, v17
	s_and_saveexec_b32 s0, vcc_lo
	s_cbranch_execnz .LBB17_40
; %bb.24:                               ;   in Loop: Header=BB17_9 Depth=1
	s_or_b32 exec_lo, exec_lo, s0
	v_cmp_gt_u32_e64 s0, s6, v4
	s_delay_alu instid0(VALU_DEP_1)
	s_and_saveexec_b32 s1, s0
	s_cbranch_execnz .LBB17_41
.LBB17_25:                              ;   in Loop: Header=BB17_9 Depth=1
	s_or_b32 exec_lo, exec_lo, s1
	v_cmp_gt_u32_e64 s1, s6, v5
	s_delay_alu instid0(VALU_DEP_1)
	s_and_saveexec_b32 s2, s1
	s_cbranch_execnz .LBB17_42
.LBB17_26:                              ;   in Loop: Header=BB17_9 Depth=1
	s_or_b32 exec_lo, exec_lo, s2
	v_cmp_gt_u32_e64 s2, s6, v6
	s_delay_alu instid0(VALU_DEP_1)
	s_and_saveexec_b32 s3, s2
	s_cbranch_execnz .LBB17_43
.LBB17_27:                              ;   in Loop: Header=BB17_9 Depth=1
	s_or_b32 exec_lo, exec_lo, s3
	v_cmp_gt_u32_e64 s3, s6, v7
	s_delay_alu instid0(VALU_DEP_1)
	s_and_saveexec_b32 s4, s3
	s_cbranch_execnz .LBB17_44
.LBB17_28:                              ;   in Loop: Header=BB17_9 Depth=1
	s_or_b32 exec_lo, exec_lo, s4
	v_cmp_gt_u32_e64 s4, s6, v8
	s_delay_alu instid0(VALU_DEP_1)
	s_and_saveexec_b32 s5, s4
	s_cbranch_execnz .LBB17_45
.LBB17_29:                              ;   in Loop: Header=BB17_9 Depth=1
	s_or_b32 exec_lo, exec_lo, s5
	v_cmp_gt_u32_e64 s5, s6, v9
	s_delay_alu instid0(VALU_DEP_1)
	s_and_saveexec_b32 s7, s5
	s_cbranch_execnz .LBB17_46
.LBB17_30:                              ;   in Loop: Header=BB17_9 Depth=1
	s_or_b32 exec_lo, exec_lo, s7
	v_cmp_gt_u32_e64 s6, s6, v10
	s_delay_alu instid0(VALU_DEP_1)
	s_and_saveexec_b32 s7, s6
	s_cbranch_execz .LBB17_32
.LBB17_31:                              ;   in Loop: Header=BB17_9 Depth=1
	global_store_b32 v[1:2], v0, off offset:28
.LBB17_32:                              ;   in Loop: Header=BB17_9 Depth=1
	s_or_b32 exec_lo, exec_lo, s7
	v_add_co_u32 v0, s7, s10, v18
	s_delay_alu instid0(VALU_DEP_1)
	v_add_co_ci_u32_e64 v1, s7, s11, v19, s7
	s_and_saveexec_b32 s7, vcc_lo
	s_cbranch_execnz .LBB17_47
; %bb.33:                               ;   in Loop: Header=BB17_9 Depth=1
	s_or_b32 exec_lo, exec_lo, s7
	s_and_saveexec_b32 s7, s0
	s_cbranch_execnz .LBB17_48
.LBB17_34:                              ;   in Loop: Header=BB17_9 Depth=1
	s_or_b32 exec_lo, exec_lo, s7
	s_and_saveexec_b32 s0, s1
	s_cbranch_execnz .LBB17_49
.LBB17_35:                              ;   in Loop: Header=BB17_9 Depth=1
	s_or_b32 exec_lo, exec_lo, s0
	s_and_saveexec_b32 s0, s2
	s_cbranch_execnz .LBB17_50
.LBB17_36:                              ;   in Loop: Header=BB17_9 Depth=1
	s_or_b32 exec_lo, exec_lo, s0
	s_and_saveexec_b32 s0, s3
	s_cbranch_execnz .LBB17_51
.LBB17_37:                              ;   in Loop: Header=BB17_9 Depth=1
	s_or_b32 exec_lo, exec_lo, s0
	s_and_saveexec_b32 s0, s4
	s_cbranch_execnz .LBB17_52
.LBB17_38:                              ;   in Loop: Header=BB17_9 Depth=1
	s_or_b32 exec_lo, exec_lo, s0
	s_and_saveexec_b32 s0, s5
	s_cbranch_execnz .LBB17_53
.LBB17_39:                              ;   in Loop: Header=BB17_9 Depth=1
	s_or_b32 exec_lo, exec_lo, s0
	s_and_saveexec_b32 s0, s6
	s_cbranch_execz .LBB17_8
	s_branch .LBB17_54
.LBB17_40:                              ;   in Loop: Header=BB17_9 Depth=1
	global_store_b32 v[1:2], v22, off
	s_or_b32 exec_lo, exec_lo, s0
	v_cmp_gt_u32_e64 s0, s6, v4
	s_delay_alu instid0(VALU_DEP_1)
	s_and_saveexec_b32 s1, s0
	s_cbranch_execz .LBB17_25
.LBB17_41:                              ;   in Loop: Header=BB17_9 Depth=1
	global_store_b32 v[1:2], v23, off offset:4
	s_or_b32 exec_lo, exec_lo, s1
	v_cmp_gt_u32_e64 s1, s6, v5
	s_delay_alu instid0(VALU_DEP_1)
	s_and_saveexec_b32 s2, s1
	s_cbranch_execz .LBB17_26
.LBB17_42:                              ;   in Loop: Header=BB17_9 Depth=1
	global_store_b32 v[1:2], v26, off offset:8
	s_or_b32 exec_lo, exec_lo, s2
	v_cmp_gt_u32_e64 s2, s6, v6
	s_delay_alu instid0(VALU_DEP_1)
	s_and_saveexec_b32 s3, s2
	s_cbranch_execz .LBB17_27
.LBB17_43:                              ;   in Loop: Header=BB17_9 Depth=1
	global_store_b32 v[1:2], v28, off offset:12
	s_or_b32 exec_lo, exec_lo, s3
	v_cmp_gt_u32_e64 s3, s6, v7
	s_delay_alu instid0(VALU_DEP_1)
	s_and_saveexec_b32 s4, s3
	s_cbranch_execz .LBB17_28
.LBB17_44:                              ;   in Loop: Header=BB17_9 Depth=1
	global_store_b32 v[1:2], v30, off offset:16
	s_or_b32 exec_lo, exec_lo, s4
	v_cmp_gt_u32_e64 s4, s6, v8
	s_delay_alu instid0(VALU_DEP_1)
	s_and_saveexec_b32 s5, s4
	s_cbranch_execz .LBB17_29
.LBB17_45:                              ;   in Loop: Header=BB17_9 Depth=1
	global_store_b32 v[1:2], v31, off offset:20
	s_or_b32 exec_lo, exec_lo, s5
	v_cmp_gt_u32_e64 s5, s6, v9
	s_delay_alu instid0(VALU_DEP_1)
	s_and_saveexec_b32 s7, s5
	s_cbranch_execz .LBB17_30
.LBB17_46:                              ;   in Loop: Header=BB17_9 Depth=1
	global_store_b32 v[1:2], v32, off offset:24
	s_or_b32 exec_lo, exec_lo, s7
	v_cmp_gt_u32_e64 s6, s6, v10
	s_delay_alu instid0(VALU_DEP_1)
	s_and_saveexec_b32 s7, s6
	s_cbranch_execnz .LBB17_31
	s_branch .LBB17_32
.LBB17_47:                              ;   in Loop: Header=BB17_9 Depth=1
	global_store_b32 v[0:1], v14, off
	s_or_b32 exec_lo, exec_lo, s7
	s_and_saveexec_b32 s7, s0
	s_cbranch_execz .LBB17_34
.LBB17_48:                              ;   in Loop: Header=BB17_9 Depth=1
	v_add_nc_u32_e32 v2, 1, v13
	global_store_b32 v[0:1], v2, off offset:4
	s_or_b32 exec_lo, exec_lo, s7
	s_and_saveexec_b32 s0, s1
	s_cbranch_execz .LBB17_35
.LBB17_49:                              ;   in Loop: Header=BB17_9 Depth=1
	v_add_nc_u32_e32 v2, 2, v15
	global_store_b32 v[0:1], v2, off offset:8
	s_or_b32 exec_lo, exec_lo, s0
	s_and_saveexec_b32 s0, s2
	s_cbranch_execz .LBB17_36
.LBB17_50:                              ;   in Loop: Header=BB17_9 Depth=1
	v_add_nc_u32_e32 v2, 3, v16
	global_store_b32 v[0:1], v2, off offset:12
	s_or_b32 exec_lo, exec_lo, s0
	s_and_saveexec_b32 s0, s3
	s_cbranch_execz .LBB17_37
.LBB17_51:                              ;   in Loop: Header=BB17_9 Depth=1
	v_add_nc_u32_e32 v2, 4, v21
	global_store_b32 v[0:1], v2, off offset:16
	s_or_b32 exec_lo, exec_lo, s0
	s_and_saveexec_b32 s0, s4
	s_cbranch_execz .LBB17_38
.LBB17_52:                              ;   in Loop: Header=BB17_9 Depth=1
	v_add_nc_u32_e32 v2, 5, v24
	global_store_b32 v[0:1], v2, off offset:20
	s_or_b32 exec_lo, exec_lo, s0
	s_and_saveexec_b32 s0, s5
	s_cbranch_execz .LBB17_39
.LBB17_53:                              ;   in Loop: Header=BB17_9 Depth=1
	v_add_nc_u32_e32 v2, 6, v27
	global_store_b32 v[0:1], v2, off offset:24
	s_or_b32 exec_lo, exec_lo, s0
	s_and_saveexec_b32 s0, s6
	s_cbranch_execz .LBB17_8
.LBB17_54:                              ;   in Loop: Header=BB17_9 Depth=1
	v_add_nc_u32_e32 v2, 7, v29
	global_store_b32 v[0:1], v2, off offset:28
	s_branch .LBB17_8
.LBB17_55:
	s_nop 0
	s_sendmsg sendmsg(MSG_DEALLOC_VGPRS)
	s_endpgm
	.section	.rodata,"a",@progbits
	.p2align	6, 0x0
	.amdhsa_kernel _Z30block_run_length_decode_kernelIiiLj256ELj8ELj8EEvPKT_PKT0_PS0_PS3_
		.amdhsa_group_segment_fixed_size 16384
		.amdhsa_private_segment_fixed_size 0
		.amdhsa_kernarg_size 32
		.amdhsa_user_sgpr_count 15
		.amdhsa_user_sgpr_dispatch_ptr 0
		.amdhsa_user_sgpr_queue_ptr 0
		.amdhsa_user_sgpr_kernarg_segment_ptr 1
		.amdhsa_user_sgpr_dispatch_id 0
		.amdhsa_user_sgpr_private_segment_size 0
		.amdhsa_wavefront_size32 1
		.amdhsa_uses_dynamic_stack 0
		.amdhsa_enable_private_segment 0
		.amdhsa_system_sgpr_workgroup_id_x 1
		.amdhsa_system_sgpr_workgroup_id_y 0
		.amdhsa_system_sgpr_workgroup_id_z 0
		.amdhsa_system_sgpr_workgroup_info 0
		.amdhsa_system_vgpr_workitem_id 0
		.amdhsa_next_free_vgpr 33
		.amdhsa_next_free_sgpr 16
		.amdhsa_reserve_vcc 1
		.amdhsa_float_round_mode_32 0
		.amdhsa_float_round_mode_16_64 0
		.amdhsa_float_denorm_mode_32 3
		.amdhsa_float_denorm_mode_16_64 3
		.amdhsa_dx10_clamp 1
		.amdhsa_ieee_mode 1
		.amdhsa_fp16_overflow 0
		.amdhsa_workgroup_processor_mode 1
		.amdhsa_memory_ordered 1
		.amdhsa_forward_progress 0
		.amdhsa_shared_vgpr_count 0
		.amdhsa_exception_fp_ieee_invalid_op 0
		.amdhsa_exception_fp_denorm_src 0
		.amdhsa_exception_fp_ieee_div_zero 0
		.amdhsa_exception_fp_ieee_overflow 0
		.amdhsa_exception_fp_ieee_underflow 0
		.amdhsa_exception_fp_ieee_inexact 0
		.amdhsa_exception_int_div_zero 0
	.end_amdhsa_kernel
	.section	.text._Z30block_run_length_decode_kernelIiiLj256ELj8ELj8EEvPKT_PKT0_PS0_PS3_,"axG",@progbits,_Z30block_run_length_decode_kernelIiiLj256ELj8ELj8EEvPKT_PKT0_PS0_PS3_,comdat
.Lfunc_end17:
	.size	_Z30block_run_length_decode_kernelIiiLj256ELj8ELj8EEvPKT_PKT0_PS0_PS3_, .Lfunc_end17-_Z30block_run_length_decode_kernelIiiLj256ELj8ELj8EEvPKT_PKT0_PS0_PS3_
                                        ; -- End function
	.section	.AMDGPU.csdata,"",@progbits
; Kernel info:
; codeLenInByte = 3228
; NumSgprs: 18
; NumVgprs: 33
; ScratchSize: 0
; MemoryBound: 0
; FloatMode: 240
; IeeeMode: 1
; LDSByteSize: 16384 bytes/workgroup (compile time only)
; SGPRBlocks: 2
; VGPRBlocks: 4
; NumSGPRsForWavesPerEU: 18
; NumVGPRsForWavesPerEU: 33
; Occupancy: 16
; WaveLimiterHint : 0
; COMPUTE_PGM_RSRC2:SCRATCH_EN: 0
; COMPUTE_PGM_RSRC2:USER_SGPR: 15
; COMPUTE_PGM_RSRC2:TRAP_HANDLER: 0
; COMPUTE_PGM_RSRC2:TGID_X_EN: 1
; COMPUTE_PGM_RSRC2:TGID_Y_EN: 0
; COMPUTE_PGM_RSRC2:TGID_Z_EN: 0
; COMPUTE_PGM_RSRC2:TIDIG_COMP_CNT: 0
	.section	.text._Z30block_run_length_decode_kernelI12hip_bfloat16iLj256ELj4ELj4EEvPKT_PKT0_PS1_PS4_,"axG",@progbits,_Z30block_run_length_decode_kernelI12hip_bfloat16iLj256ELj4ELj4EEvPKT_PKT0_PS1_PS4_,comdat
	.protected	_Z30block_run_length_decode_kernelI12hip_bfloat16iLj256ELj4ELj4EEvPKT_PKT0_PS1_PS4_ ; -- Begin function _Z30block_run_length_decode_kernelI12hip_bfloat16iLj256ELj4ELj4EEvPKT_PKT0_PS1_PS4_
	.globl	_Z30block_run_length_decode_kernelI12hip_bfloat16iLj256ELj4ELj4EEvPKT_PKT0_PS1_PS4_
	.p2align	8
	.type	_Z30block_run_length_decode_kernelI12hip_bfloat16iLj256ELj4ELj4EEvPKT_PKT0_PS1_PS4_,@function
_Z30block_run_length_decode_kernelI12hip_bfloat16iLj256ELj4ELj4EEvPKT_PKT0_PS1_PS4_: ; @_Z30block_run_length_decode_kernelI12hip_bfloat16iLj256ELj4ELj4EEvPKT_PKT0_PS1_PS4_
; %bb.0:
	s_load_b256 s[0:7], s[0:1], 0x0
	v_lshlrev_b32_e32 v12, 2, v0
	v_mov_b32_e32 v6, 0
	v_mbcnt_lo_u32_b32 v13, -1, 0
	v_or_b32_e32 v16, 31, v0
	s_delay_alu instid0(VALU_DEP_4) | instskip(NEXT) | instid1(VALU_DEP_1)
	v_lshl_or_b32 v5, s15, 10, v12
	v_lshlrev_b64 v[8:9], 2, v[5:6]
	v_lshlrev_b64 v[6:7], 1, v[5:6]
	s_waitcnt lgkmcnt(0)
	s_delay_alu instid0(VALU_DEP_2) | instskip(NEXT) | instid1(VALU_DEP_3)
	v_add_co_u32 v1, vcc_lo, s2, v8
	v_add_co_ci_u32_e32 v2, vcc_lo, s3, v9, vcc_lo
	s_delay_alu instid0(VALU_DEP_3) | instskip(NEXT) | instid1(VALU_DEP_4)
	v_add_co_u32 v10, vcc_lo, s0, v6
	v_add_co_ci_u32_e32 v11, vcc_lo, s1, v7, vcc_lo
	global_load_b128 v[1:4], v[1:2], off
	s_mov_b32 s0, exec_lo
	global_load_b64 v[10:11], v[10:11], off
	s_waitcnt vmcnt(1)
	v_add_nc_u32_e32 v14, v2, v1
	s_delay_alu instid0(VALU_DEP_1) | instskip(SKIP_1) | instid1(VALU_DEP_2)
	v_add3_u32 v4, v14, v3, v4
	v_and_b32_e32 v14, 15, v13
	v_mov_b32_dpp v15, v4 row_shr:1 row_mask:0xf bank_mask:0xf
	s_delay_alu instid0(VALU_DEP_2) | instskip(NEXT) | instid1(VALU_DEP_2)
	v_cmp_ne_u32_e32 vcc_lo, 0, v14
	v_cndmask_b32_e32 v15, 0, v15, vcc_lo
	v_cmp_lt_u32_e32 vcc_lo, 1, v14
	s_delay_alu instid0(VALU_DEP_2) | instskip(NEXT) | instid1(VALU_DEP_1)
	v_add_nc_u32_e32 v4, v15, v4
	v_mov_b32_dpp v15, v4 row_shr:2 row_mask:0xf bank_mask:0xf
	s_delay_alu instid0(VALU_DEP_1) | instskip(SKIP_1) | instid1(VALU_DEP_2)
	v_cndmask_b32_e32 v15, 0, v15, vcc_lo
	v_cmp_lt_u32_e32 vcc_lo, 3, v14
	v_add_nc_u32_e32 v4, v4, v15
	s_delay_alu instid0(VALU_DEP_1) | instskip(NEXT) | instid1(VALU_DEP_1)
	v_mov_b32_dpp v15, v4 row_shr:4 row_mask:0xf bank_mask:0xf
	v_cndmask_b32_e32 v15, 0, v15, vcc_lo
	v_cmp_lt_u32_e32 vcc_lo, 7, v14
	s_delay_alu instid0(VALU_DEP_2) | instskip(NEXT) | instid1(VALU_DEP_1)
	v_add_nc_u32_e32 v4, v4, v15
	v_mov_b32_dpp v15, v4 row_shr:8 row_mask:0xf bank_mask:0xf
	s_delay_alu instid0(VALU_DEP_1) | instskip(SKIP_1) | instid1(VALU_DEP_2)
	v_cndmask_b32_e32 v14, 0, v15, vcc_lo
	v_bfe_i32 v15, v13, 4, 1
	v_add_nc_u32_e32 v4, v4, v14
	ds_swizzle_b32 v14, v4 offset:swizzle(BROADCAST,32,15)
	s_waitcnt lgkmcnt(0)
	v_and_b32_e32 v15, v15, v14
	v_lshrrev_b32_e32 v14, 5, v0
	s_delay_alu instid0(VALU_DEP_2)
	v_add_nc_u32_e32 v4, v4, v15
	v_cmpx_eq_u32_e64 v16, v0
	s_cbranch_execz .LBB18_2
; %bb.1:
	s_delay_alu instid0(VALU_DEP_3)
	v_lshlrev_b32_e32 v15, 2, v14
	ds_store_b32 v15, v4
.LBB18_2:
	s_or_b32 exec_lo, exec_lo, s0
	s_delay_alu instid0(SALU_CYCLE_1)
	s_mov_b32 s0, exec_lo
	s_waitcnt vmcnt(0) lgkmcnt(0)
	s_barrier
	buffer_gl0_inv
	v_cmpx_gt_u32_e32 8, v0
	s_cbranch_execz .LBB18_4
; %bb.3:
	ds_load_b32 v15, v12
	v_and_b32_e32 v16, 7, v13
	s_delay_alu instid0(VALU_DEP_1) | instskip(SKIP_2) | instid1(VALU_DEP_1)
	v_cmp_ne_u32_e32 vcc_lo, 0, v16
	s_waitcnt lgkmcnt(0)
	v_mov_b32_dpp v17, v15 row_shr:1 row_mask:0xf bank_mask:0xf
	v_cndmask_b32_e32 v17, 0, v17, vcc_lo
	v_cmp_lt_u32_e32 vcc_lo, 1, v16
	s_delay_alu instid0(VALU_DEP_2) | instskip(NEXT) | instid1(VALU_DEP_1)
	v_add_nc_u32_e32 v15, v17, v15
	v_mov_b32_dpp v17, v15 row_shr:2 row_mask:0xf bank_mask:0xf
	s_delay_alu instid0(VALU_DEP_1) | instskip(SKIP_1) | instid1(VALU_DEP_2)
	v_cndmask_b32_e32 v17, 0, v17, vcc_lo
	v_cmp_lt_u32_e32 vcc_lo, 3, v16
	v_add_nc_u32_e32 v15, v15, v17
	s_delay_alu instid0(VALU_DEP_1) | instskip(NEXT) | instid1(VALU_DEP_1)
	v_mov_b32_dpp v17, v15 row_shr:4 row_mask:0xf bank_mask:0xf
	v_cndmask_b32_e32 v16, 0, v17, vcc_lo
	s_delay_alu instid0(VALU_DEP_1)
	v_add_nc_u32_e32 v15, v15, v16
	ds_store_b32 v12, v15
.LBB18_4:
	s_or_b32 exec_lo, exec_lo, s0
	v_dual_mov_b32 v15, 0 :: v_dual_mov_b32 v16, 0
	s_mov_b32 s0, exec_lo
	s_waitcnt lgkmcnt(0)
	s_barrier
	buffer_gl0_inv
	v_cmpx_lt_u32_e32 31, v0
	s_cbranch_execz .LBB18_6
; %bb.5:
	v_lshl_add_u32 v14, v14, 2, -4
	ds_load_b32 v16, v14
.LBB18_6:
	s_or_b32 exec_lo, exec_lo, s0
	v_add_nc_u32_e32 v14, -1, v13
	s_waitcnt lgkmcnt(0)
	v_add_nc_u32_e32 v4, v16, v4
	s_mov_b32 s3, 0
	s_delay_alu instid0(VALU_DEP_2) | instskip(SKIP_3) | instid1(VALU_DEP_3)
	v_cmp_gt_i32_e32 vcc_lo, 0, v14
	v_cndmask_b32_e32 v14, v14, v13, vcc_lo
	v_cmp_eq_u32_e32 vcc_lo, 0, v13
	v_lshlrev_b32_e32 v13, 1, v12
	v_lshlrev_b32_e32 v14, 2, v14
	ds_bpermute_b32 v4, v14, v4
	ds_load_b32 v14, v15 offset:28
	s_waitcnt lgkmcnt(0)
	s_barrier
	buffer_gl0_inv
	v_cndmask_b32_e32 v4, v4, v16, vcc_lo
	v_cmp_ne_u32_e32 vcc_lo, 0, v0
	v_readfirstlane_b32 s8, v14
	s_delay_alu instid0(VALU_DEP_3) | instskip(SKIP_2) | instid1(VALU_DEP_3)
	v_cndmask_b32_e32 v0, 0, v4, vcc_lo
	v_lshlrev_b32_e32 v4, 2, v12
	v_cmp_eq_u32_e32 vcc_lo, 0, v14
	v_add_nc_u32_e32 v1, v0, v1
	s_delay_alu instid0(VALU_DEP_3) | instskip(SKIP_2) | instid1(VALU_DEP_3)
	v_add_nc_u32_e32 v15, 0x800, v4
	v_add_nc_u32_e32 v4, 0x808, v4
	s_and_b32 vcc_lo, exec_lo, vcc_lo
	v_add_nc_u32_e32 v2, v1, v2
	s_delay_alu instid0(VALU_DEP_1)
	v_add_nc_u32_e32 v3, v2, v3
	ds_store_b64 v13, v[10:11]
	ds_store_2addr_b32 v15, v0, v1 offset1:1
	ds_store_2addr_b32 v4, v2, v3 offset1:1
	s_waitcnt lgkmcnt(0)
	s_barrier
	buffer_gl0_inv
	s_cbranch_vccnz .LBB18_31
; %bb.7:
	v_mov_b32_e32 v0, 0
	v_or_b32_e32 v4, 1, v5
	v_or_b32_e32 v10, 2, v5
	;; [unrolled: 1-line block ×3, first 2 shown]
	ds_load_b32 v13, v0 offset:4096
	v_add_co_u32 v0, vcc_lo, v8, s6
	v_add_co_ci_u32_e32 v1, vcc_lo, s7, v9, vcc_lo
	v_mov_b32_e32 v9, 0x100
	v_add_co_u32 v2, vcc_lo, v6, s4
	v_add_co_ci_u32_e32 v3, vcc_lo, s5, v7, vcc_lo
	v_add_co_u32 v0, vcc_lo, v0, 12
	v_add_co_ci_u32_e32 v1, vcc_lo, 0, v1, vcc_lo
	s_delay_alu instid0(VALU_DEP_4) | instskip(NEXT) | instid1(VALU_DEP_4)
	v_add_co_u32 v2, vcc_lo, v2, 4
	v_add_co_ci_u32_e32 v3, vcc_lo, 0, v3, vcc_lo
	v_mov_b32_e32 v8, 0x200
	s_mov_b32 s4, s8
	s_branch .LBB18_9
.LBB18_8:                               ;   in Loop: Header=BB18_9 Depth=1
	s_or_b32 exec_lo, exec_lo, s0
	v_add_co_u32 v0, vcc_lo, 0x1000, v0
	v_add_co_ci_u32_e32 v1, vcc_lo, 0, v1, vcc_lo
	v_add_co_u32 v2, vcc_lo, 0x800, v2
	v_add_co_ci_u32_e32 v3, vcc_lo, 0, v3, vcc_lo
	s_addk_i32 s3, 0x400
	s_addk_i32 s4, 0xfc00
	s_cmp_lt_u32 s3, s8
	s_cbranch_scc0 .LBB18_31
.LBB18_9:                               ; =>This Inner Loop Header: Depth=1
	v_add_nc_u32_e32 v14, s3, v12
	s_waitcnt lgkmcnt(0)
	s_delay_alu instid0(VALU_DEP_1) | instskip(SKIP_2) | instid1(VALU_DEP_2)
	v_cmp_gt_u32_e32 vcc_lo, v13, v14
	v_cndmask_b32_e32 v7, 0x300, v9, vcc_lo
	v_cndmask_b32_e64 v6, 0x201, 0, vcc_lo
	v_dual_cndmask_b32 v16, 0x400, v8 :: v_dual_lshlrev_b32 v15, 2, v7
	v_or_b32_e32 v17, 1, v7
	ds_load_b32 v15, v15 offset:2048
	s_waitcnt lgkmcnt(0)
	v_cmp_gt_u32_e32 vcc_lo, v15, v14
	v_dual_cndmask_b32 v6, v17, v6 :: v_dual_cndmask_b32 v7, v16, v7
	s_delay_alu instid0(VALU_DEP_1) | instskip(NEXT) | instid1(VALU_DEP_1)
	v_sub_nc_u32_e32 v15, v7, v6
	v_lshrrev_b16 v16, 15, v15
	s_delay_alu instid0(VALU_DEP_1) | instskip(NEXT) | instid1(VALU_DEP_1)
	v_add_nc_u16 v15, v15, v16
	v_ashrrev_i16 v15, 1, v15
	s_delay_alu instid0(VALU_DEP_1) | instskip(NEXT) | instid1(VALU_DEP_1)
	v_bfe_i32 v15, v15, 0, 16
	v_add_nc_u32_e32 v15, v6, v15
	s_delay_alu instid0(VALU_DEP_1) | instskip(NEXT) | instid1(VALU_DEP_1)
	v_min_i32_e32 v15, 0x3ff, v15
	v_lshlrev_b32_e32 v16, 2, v15
	v_add_nc_u32_e32 v17, 1, v15
	ds_load_b32 v16, v16 offset:2048
	s_waitcnt lgkmcnt(0)
	v_cmp_gt_u32_e32 vcc_lo, v16, v14
	v_dual_cndmask_b32 v6, v17, v6 :: v_dual_cndmask_b32 v7, v7, v15
	s_delay_alu instid0(VALU_DEP_1) | instskip(NEXT) | instid1(VALU_DEP_1)
	v_sub_nc_u32_e32 v15, v7, v6
	v_lshrrev_b16 v16, 15, v15
	s_delay_alu instid0(VALU_DEP_1) | instskip(NEXT) | instid1(VALU_DEP_1)
	v_add_nc_u16 v15, v15, v16
	v_ashrrev_i16 v15, 1, v15
	s_delay_alu instid0(VALU_DEP_1) | instskip(NEXT) | instid1(VALU_DEP_1)
	v_bfe_i32 v15, v15, 0, 16
	v_add_nc_u32_e32 v15, v6, v15
	s_delay_alu instid0(VALU_DEP_1) | instskip(NEXT) | instid1(VALU_DEP_1)
	v_min_i32_e32 v15, 0x3ff, v15
	v_lshlrev_b32_e32 v16, 2, v15
	v_add_nc_u32_e32 v17, 1, v15
	;; [unrolled: 17-line block ×9, first 2 shown]
	ds_load_b32 v15, v15 offset:2048
	s_waitcnt lgkmcnt(0)
	v_cmp_gt_u32_e32 vcc_lo, v15, v14
	v_cndmask_b32_e32 v20, v7, v6, vcc_lo
	s_delay_alu instid0(VALU_DEP_1) | instskip(SKIP_1) | instid1(VALU_DEP_2)
	v_lshlrev_b32_e32 v16, 2, v20
	v_lshl_add_u32 v15, v20, 1, -2
	v_add_nc_u32_e32 v6, 0x7fc, v16
	ds_load_u16 v17, v15
	v_add_nc_u32_e32 v15, 1, v14
	ds_load_2addr_b32 v[6:7], v6 offset1:1
	s_waitcnt lgkmcnt(1)
	v_mov_b32_e32 v18, v17
	s_waitcnt lgkmcnt(0)
	v_sub_nc_u32_e32 v6, v14, v6
	v_cmp_eq_u32_e32 vcc_lo, v15, v7
	s_delay_alu instid0(VALU_DEP_2)
	v_mov_b32_e32 v15, v6
	s_and_saveexec_b32 s0, vcc_lo
	s_cbranch_execz .LBB18_11
; %bb.10:                               ;   in Loop: Header=BB18_9 Depth=1
	v_lshlrev_b32_e32 v15, 1, v20
	ds_load_b32 v16, v16 offset:2052
	ds_load_u16 v18, v15
	v_add_nc_u32_e32 v20, 1, v20
	v_sub_nc_u32_e32 v15, v14, v7
	s_waitcnt lgkmcnt(1)
	v_mov_b32_e32 v7, v16
.LBB18_11:                              ;   in Loop: Header=BB18_9 Depth=1
	s_or_b32 exec_lo, exec_lo, s0
	s_delay_alu instid0(VALU_DEP_1) | instskip(SKIP_3) | instid1(VALU_DEP_2)
	v_dual_mov_b32 v16, v15 :: v_dual_add_nc_u32 v19, 2, v14
	s_waitcnt lgkmcnt(0)
	v_mov_b32_e32 v21, v18
	s_mov_b32 s0, exec_lo
	v_cmpx_eq_u32_e64 v19, v7
	s_cbranch_execz .LBB18_13
; %bb.12:                               ;   in Loop: Header=BB18_9 Depth=1
	v_lshlrev_b32_e32 v16, 1, v20
	v_add_nc_u32_e32 v20, 1, v20
	s_delay_alu instid0(VALU_DEP_1)
	v_lshlrev_b32_e32 v19, 2, v20
	ds_load_b32 v19, v19 offset:2048
	ds_load_u16 v21, v16
	v_sub_nc_u32_e32 v16, v14, v7
	s_waitcnt lgkmcnt(1)
	v_mov_b32_e32 v7, v19
.LBB18_13:                              ;   in Loop: Header=BB18_9 Depth=1
	s_or_b32 exec_lo, exec_lo, s0
	s_delay_alu instid0(VALU_DEP_2) | instskip(NEXT) | instid1(VALU_DEP_1)
	v_dual_mov_b32 v19, v16 :: v_dual_add_nc_u32 v22, 3, v14
	v_cmp_eq_u32_e32 vcc_lo, v22, v7
	s_waitcnt lgkmcnt(0)
	v_mov_b32_e32 v7, v21
	s_and_saveexec_b32 s0, vcc_lo
	s_cbranch_execz .LBB18_15
; %bb.14:                               ;   in Loop: Header=BB18_9 Depth=1
	v_lshlrev_b32_e32 v7, 2, v20
	v_lshlrev_b32_e32 v19, 1, v20
	ds_load_b32 v20, v7 offset:2048
	ds_load_u16 v7, v19
	s_waitcnt lgkmcnt(1)
	v_sub_nc_u32_e32 v19, v14, v20
.LBB18_15:                              ;   in Loop: Header=BB18_9 Depth=1
	s_or_b32 exec_lo, exec_lo, s0
	s_min_u32 s2, s4, 0x400
	s_delay_alu instid0(SALU_CYCLE_1)
	v_cmp_gt_u32_e32 vcc_lo, s2, v5
	s_and_saveexec_b32 s0, vcc_lo
	s_cbranch_execnz .LBB18_23
; %bb.16:                               ;   in Loop: Header=BB18_9 Depth=1
	s_or_b32 exec_lo, exec_lo, s0
	v_cmp_gt_u32_e64 s0, s2, v4
	s_delay_alu instid0(VALU_DEP_1)
	s_and_saveexec_b32 s1, s0
	s_cbranch_execnz .LBB18_24
.LBB18_17:                              ;   in Loop: Header=BB18_9 Depth=1
	s_or_b32 exec_lo, exec_lo, s1
	v_cmp_gt_u32_e64 s1, s2, v10
	s_delay_alu instid0(VALU_DEP_1)
	s_and_saveexec_b32 s5, s1
	s_cbranch_execnz .LBB18_25
.LBB18_18:                              ;   in Loop: Header=BB18_9 Depth=1
	s_or_b32 exec_lo, exec_lo, s5
	v_cmp_gt_u32_e64 s2, s2, v11
	s_delay_alu instid0(VALU_DEP_1)
	s_and_saveexec_b32 s5, s2
	s_cbranch_execnz .LBB18_26
.LBB18_19:                              ;   in Loop: Header=BB18_9 Depth=1
	s_or_b32 exec_lo, exec_lo, s5
	s_and_saveexec_b32 s5, vcc_lo
	s_cbranch_execnz .LBB18_27
.LBB18_20:                              ;   in Loop: Header=BB18_9 Depth=1
	s_or_b32 exec_lo, exec_lo, s5
	s_and_saveexec_b32 s5, s0
	s_cbranch_execnz .LBB18_28
.LBB18_21:                              ;   in Loop: Header=BB18_9 Depth=1
	s_or_b32 exec_lo, exec_lo, s5
	s_and_saveexec_b32 s0, s1
	s_cbranch_execnz .LBB18_29
.LBB18_22:                              ;   in Loop: Header=BB18_9 Depth=1
	s_or_b32 exec_lo, exec_lo, s0
	s_and_saveexec_b32 s0, s2
	s_cbranch_execz .LBB18_8
	s_branch .LBB18_30
.LBB18_23:                              ;   in Loop: Header=BB18_9 Depth=1
	global_store_b16 v[2:3], v17, off offset:-4
	s_or_b32 exec_lo, exec_lo, s0
	v_cmp_gt_u32_e64 s0, s2, v4
	s_delay_alu instid0(VALU_DEP_1)
	s_and_saveexec_b32 s1, s0
	s_cbranch_execz .LBB18_17
.LBB18_24:                              ;   in Loop: Header=BB18_9 Depth=1
	global_store_b16 v[2:3], v18, off offset:-2
	s_or_b32 exec_lo, exec_lo, s1
	v_cmp_gt_u32_e64 s1, s2, v10
	s_delay_alu instid0(VALU_DEP_1)
	s_and_saveexec_b32 s5, s1
	s_cbranch_execz .LBB18_18
.LBB18_25:                              ;   in Loop: Header=BB18_9 Depth=1
	global_store_b16 v[2:3], v21, off
	s_or_b32 exec_lo, exec_lo, s5
	v_cmp_gt_u32_e64 s2, s2, v11
	s_delay_alu instid0(VALU_DEP_1)
	s_and_saveexec_b32 s5, s2
	s_cbranch_execz .LBB18_19
.LBB18_26:                              ;   in Loop: Header=BB18_9 Depth=1
	s_waitcnt lgkmcnt(0)
	global_store_b16 v[2:3], v7, off offset:2
	s_or_b32 exec_lo, exec_lo, s5
	s_and_saveexec_b32 s5, vcc_lo
	s_cbranch_execz .LBB18_20
.LBB18_27:                              ;   in Loop: Header=BB18_9 Depth=1
	global_store_b32 v[0:1], v6, off offset:-12
	s_or_b32 exec_lo, exec_lo, s5
	s_and_saveexec_b32 s5, s0
	s_cbranch_execz .LBB18_21
.LBB18_28:                              ;   in Loop: Header=BB18_9 Depth=1
	v_add_nc_u32_e32 v6, 1, v15
	global_store_b32 v[0:1], v6, off offset:-8
	s_or_b32 exec_lo, exec_lo, s5
	s_and_saveexec_b32 s0, s1
	s_cbranch_execz .LBB18_22
.LBB18_29:                              ;   in Loop: Header=BB18_9 Depth=1
	v_add_nc_u32_e32 v6, 2, v16
	global_store_b32 v[0:1], v6, off offset:-4
	s_or_b32 exec_lo, exec_lo, s0
	s_and_saveexec_b32 s0, s2
	s_cbranch_execz .LBB18_8
.LBB18_30:                              ;   in Loop: Header=BB18_9 Depth=1
	v_add_nc_u32_e32 v6, 3, v19
	global_store_b32 v[0:1], v6, off
	s_branch .LBB18_8
.LBB18_31:
	s_nop 0
	s_sendmsg sendmsg(MSG_DEALLOC_VGPRS)
	s_endpgm
	.section	.rodata,"a",@progbits
	.p2align	6, 0x0
	.amdhsa_kernel _Z30block_run_length_decode_kernelI12hip_bfloat16iLj256ELj4ELj4EEvPKT_PKT0_PS1_PS4_
		.amdhsa_group_segment_fixed_size 6144
		.amdhsa_private_segment_fixed_size 0
		.amdhsa_kernarg_size 32
		.amdhsa_user_sgpr_count 15
		.amdhsa_user_sgpr_dispatch_ptr 0
		.amdhsa_user_sgpr_queue_ptr 0
		.amdhsa_user_sgpr_kernarg_segment_ptr 1
		.amdhsa_user_sgpr_dispatch_id 0
		.amdhsa_user_sgpr_private_segment_size 0
		.amdhsa_wavefront_size32 1
		.amdhsa_uses_dynamic_stack 0
		.amdhsa_enable_private_segment 0
		.amdhsa_system_sgpr_workgroup_id_x 1
		.amdhsa_system_sgpr_workgroup_id_y 0
		.amdhsa_system_sgpr_workgroup_id_z 0
		.amdhsa_system_sgpr_workgroup_info 0
		.amdhsa_system_vgpr_workitem_id 0
		.amdhsa_next_free_vgpr 23
		.amdhsa_next_free_sgpr 16
		.amdhsa_reserve_vcc 1
		.amdhsa_float_round_mode_32 0
		.amdhsa_float_round_mode_16_64 0
		.amdhsa_float_denorm_mode_32 3
		.amdhsa_float_denorm_mode_16_64 3
		.amdhsa_dx10_clamp 1
		.amdhsa_ieee_mode 1
		.amdhsa_fp16_overflow 0
		.amdhsa_workgroup_processor_mode 1
		.amdhsa_memory_ordered 1
		.amdhsa_forward_progress 0
		.amdhsa_shared_vgpr_count 0
		.amdhsa_exception_fp_ieee_invalid_op 0
		.amdhsa_exception_fp_denorm_src 0
		.amdhsa_exception_fp_ieee_div_zero 0
		.amdhsa_exception_fp_ieee_overflow 0
		.amdhsa_exception_fp_ieee_underflow 0
		.amdhsa_exception_fp_ieee_inexact 0
		.amdhsa_exception_int_div_zero 0
	.end_amdhsa_kernel
	.section	.text._Z30block_run_length_decode_kernelI12hip_bfloat16iLj256ELj4ELj4EEvPKT_PKT0_PS1_PS4_,"axG",@progbits,_Z30block_run_length_decode_kernelI12hip_bfloat16iLj256ELj4ELj4EEvPKT_PKT0_PS1_PS4_,comdat
.Lfunc_end18:
	.size	_Z30block_run_length_decode_kernelI12hip_bfloat16iLj256ELj4ELj4EEvPKT_PKT0_PS1_PS4_, .Lfunc_end18-_Z30block_run_length_decode_kernelI12hip_bfloat16iLj256ELj4ELj4EEvPKT_PKT0_PS1_PS4_
                                        ; -- End function
	.section	.AMDGPU.csdata,"",@progbits
; Kernel info:
; codeLenInByte = 2412
; NumSgprs: 18
; NumVgprs: 23
; ScratchSize: 0
; MemoryBound: 0
; FloatMode: 240
; IeeeMode: 1
; LDSByteSize: 6144 bytes/workgroup (compile time only)
; SGPRBlocks: 2
; VGPRBlocks: 2
; NumSGPRsForWavesPerEU: 18
; NumVGPRsForWavesPerEU: 23
; Occupancy: 16
; WaveLimiterHint : 0
; COMPUTE_PGM_RSRC2:SCRATCH_EN: 0
; COMPUTE_PGM_RSRC2:USER_SGPR: 15
; COMPUTE_PGM_RSRC2:TRAP_HANDLER: 0
; COMPUTE_PGM_RSRC2:TGID_X_EN: 1
; COMPUTE_PGM_RSRC2:TGID_Y_EN: 0
; COMPUTE_PGM_RSRC2:TGID_Z_EN: 0
; COMPUTE_PGM_RSRC2:TIDIG_COMP_CNT: 0
	.section	.text._Z30block_run_length_decode_kernelI6__halfiLj256ELj4ELj4EEvPKT_PKT0_PS1_PS4_,"axG",@progbits,_Z30block_run_length_decode_kernelI6__halfiLj256ELj4ELj4EEvPKT_PKT0_PS1_PS4_,comdat
	.protected	_Z30block_run_length_decode_kernelI6__halfiLj256ELj4ELj4EEvPKT_PKT0_PS1_PS4_ ; -- Begin function _Z30block_run_length_decode_kernelI6__halfiLj256ELj4ELj4EEvPKT_PKT0_PS1_PS4_
	.globl	_Z30block_run_length_decode_kernelI6__halfiLj256ELj4ELj4EEvPKT_PKT0_PS1_PS4_
	.p2align	8
	.type	_Z30block_run_length_decode_kernelI6__halfiLj256ELj4ELj4EEvPKT_PKT0_PS1_PS4_,@function
_Z30block_run_length_decode_kernelI6__halfiLj256ELj4ELj4EEvPKT_PKT0_PS1_PS4_: ; @_Z30block_run_length_decode_kernelI6__halfiLj256ELj4ELj4EEvPKT_PKT0_PS1_PS4_
; %bb.0:
	s_load_b256 s[0:7], s[0:1], 0x0
	v_lshlrev_b32_e32 v12, 2, v0
	v_mov_b32_e32 v6, 0
	v_mbcnt_lo_u32_b32 v13, -1, 0
	v_or_b32_e32 v16, 31, v0
	s_delay_alu instid0(VALU_DEP_4) | instskip(NEXT) | instid1(VALU_DEP_1)
	v_lshl_or_b32 v5, s15, 10, v12
	v_lshlrev_b64 v[8:9], 2, v[5:6]
	v_lshlrev_b64 v[6:7], 1, v[5:6]
	s_waitcnt lgkmcnt(0)
	s_delay_alu instid0(VALU_DEP_2) | instskip(NEXT) | instid1(VALU_DEP_3)
	v_add_co_u32 v1, vcc_lo, s2, v8
	v_add_co_ci_u32_e32 v2, vcc_lo, s3, v9, vcc_lo
	s_delay_alu instid0(VALU_DEP_3) | instskip(NEXT) | instid1(VALU_DEP_4)
	v_add_co_u32 v10, vcc_lo, s0, v6
	v_add_co_ci_u32_e32 v11, vcc_lo, s1, v7, vcc_lo
	global_load_b128 v[1:4], v[1:2], off
	s_mov_b32 s0, exec_lo
	global_load_b64 v[10:11], v[10:11], off
	s_waitcnt vmcnt(1)
	v_add_nc_u32_e32 v14, v2, v1
	s_delay_alu instid0(VALU_DEP_1) | instskip(SKIP_1) | instid1(VALU_DEP_2)
	v_add3_u32 v4, v14, v3, v4
	v_and_b32_e32 v14, 15, v13
	v_mov_b32_dpp v15, v4 row_shr:1 row_mask:0xf bank_mask:0xf
	s_delay_alu instid0(VALU_DEP_2) | instskip(NEXT) | instid1(VALU_DEP_2)
	v_cmp_ne_u32_e32 vcc_lo, 0, v14
	v_cndmask_b32_e32 v15, 0, v15, vcc_lo
	v_cmp_lt_u32_e32 vcc_lo, 1, v14
	s_delay_alu instid0(VALU_DEP_2) | instskip(NEXT) | instid1(VALU_DEP_1)
	v_add_nc_u32_e32 v4, v15, v4
	v_mov_b32_dpp v15, v4 row_shr:2 row_mask:0xf bank_mask:0xf
	s_delay_alu instid0(VALU_DEP_1) | instskip(SKIP_1) | instid1(VALU_DEP_2)
	v_cndmask_b32_e32 v15, 0, v15, vcc_lo
	v_cmp_lt_u32_e32 vcc_lo, 3, v14
	v_add_nc_u32_e32 v4, v4, v15
	s_delay_alu instid0(VALU_DEP_1) | instskip(NEXT) | instid1(VALU_DEP_1)
	v_mov_b32_dpp v15, v4 row_shr:4 row_mask:0xf bank_mask:0xf
	v_cndmask_b32_e32 v15, 0, v15, vcc_lo
	v_cmp_lt_u32_e32 vcc_lo, 7, v14
	s_delay_alu instid0(VALU_DEP_2) | instskip(NEXT) | instid1(VALU_DEP_1)
	v_add_nc_u32_e32 v4, v4, v15
	v_mov_b32_dpp v15, v4 row_shr:8 row_mask:0xf bank_mask:0xf
	s_delay_alu instid0(VALU_DEP_1) | instskip(SKIP_1) | instid1(VALU_DEP_2)
	v_cndmask_b32_e32 v14, 0, v15, vcc_lo
	v_bfe_i32 v15, v13, 4, 1
	v_add_nc_u32_e32 v4, v4, v14
	ds_swizzle_b32 v14, v4 offset:swizzle(BROADCAST,32,15)
	s_waitcnt lgkmcnt(0)
	v_and_b32_e32 v15, v15, v14
	v_lshrrev_b32_e32 v14, 5, v0
	s_delay_alu instid0(VALU_DEP_2)
	v_add_nc_u32_e32 v4, v4, v15
	v_cmpx_eq_u32_e64 v16, v0
	s_cbranch_execz .LBB19_2
; %bb.1:
	s_delay_alu instid0(VALU_DEP_3)
	v_lshlrev_b32_e32 v15, 2, v14
	ds_store_b32 v15, v4
.LBB19_2:
	s_or_b32 exec_lo, exec_lo, s0
	s_delay_alu instid0(SALU_CYCLE_1)
	s_mov_b32 s0, exec_lo
	s_waitcnt vmcnt(0) lgkmcnt(0)
	s_barrier
	buffer_gl0_inv
	v_cmpx_gt_u32_e32 8, v0
	s_cbranch_execz .LBB19_4
; %bb.3:
	ds_load_b32 v15, v12
	v_and_b32_e32 v16, 7, v13
	s_delay_alu instid0(VALU_DEP_1) | instskip(SKIP_2) | instid1(VALU_DEP_1)
	v_cmp_ne_u32_e32 vcc_lo, 0, v16
	s_waitcnt lgkmcnt(0)
	v_mov_b32_dpp v17, v15 row_shr:1 row_mask:0xf bank_mask:0xf
	v_cndmask_b32_e32 v17, 0, v17, vcc_lo
	v_cmp_lt_u32_e32 vcc_lo, 1, v16
	s_delay_alu instid0(VALU_DEP_2) | instskip(NEXT) | instid1(VALU_DEP_1)
	v_add_nc_u32_e32 v15, v17, v15
	v_mov_b32_dpp v17, v15 row_shr:2 row_mask:0xf bank_mask:0xf
	s_delay_alu instid0(VALU_DEP_1) | instskip(SKIP_1) | instid1(VALU_DEP_2)
	v_cndmask_b32_e32 v17, 0, v17, vcc_lo
	v_cmp_lt_u32_e32 vcc_lo, 3, v16
	v_add_nc_u32_e32 v15, v15, v17
	s_delay_alu instid0(VALU_DEP_1) | instskip(NEXT) | instid1(VALU_DEP_1)
	v_mov_b32_dpp v17, v15 row_shr:4 row_mask:0xf bank_mask:0xf
	v_cndmask_b32_e32 v16, 0, v17, vcc_lo
	s_delay_alu instid0(VALU_DEP_1)
	v_add_nc_u32_e32 v15, v15, v16
	ds_store_b32 v12, v15
.LBB19_4:
	s_or_b32 exec_lo, exec_lo, s0
	v_dual_mov_b32 v15, 0 :: v_dual_mov_b32 v16, 0
	s_mov_b32 s0, exec_lo
	s_waitcnt lgkmcnt(0)
	s_barrier
	buffer_gl0_inv
	v_cmpx_lt_u32_e32 31, v0
	s_cbranch_execz .LBB19_6
; %bb.5:
	v_lshl_add_u32 v14, v14, 2, -4
	ds_load_b32 v16, v14
.LBB19_6:
	s_or_b32 exec_lo, exec_lo, s0
	v_add_nc_u32_e32 v14, -1, v13
	s_waitcnt lgkmcnt(0)
	v_add_nc_u32_e32 v4, v16, v4
	s_mov_b32 s3, 0
	s_delay_alu instid0(VALU_DEP_2) | instskip(SKIP_3) | instid1(VALU_DEP_3)
	v_cmp_gt_i32_e32 vcc_lo, 0, v14
	v_cndmask_b32_e32 v14, v14, v13, vcc_lo
	v_cmp_eq_u32_e32 vcc_lo, 0, v13
	v_lshlrev_b32_e32 v13, 1, v12
	v_lshlrev_b32_e32 v14, 2, v14
	ds_bpermute_b32 v4, v14, v4
	ds_load_b32 v14, v15 offset:28
	s_waitcnt lgkmcnt(0)
	s_barrier
	buffer_gl0_inv
	v_cndmask_b32_e32 v4, v4, v16, vcc_lo
	v_cmp_ne_u32_e32 vcc_lo, 0, v0
	v_readfirstlane_b32 s8, v14
	s_delay_alu instid0(VALU_DEP_3) | instskip(SKIP_2) | instid1(VALU_DEP_3)
	v_cndmask_b32_e32 v0, 0, v4, vcc_lo
	v_lshlrev_b32_e32 v4, 2, v12
	v_cmp_eq_u32_e32 vcc_lo, 0, v14
	v_add_nc_u32_e32 v1, v0, v1
	s_delay_alu instid0(VALU_DEP_3) | instskip(SKIP_2) | instid1(VALU_DEP_3)
	v_add_nc_u32_e32 v15, 0x800, v4
	v_add_nc_u32_e32 v4, 0x808, v4
	s_and_b32 vcc_lo, exec_lo, vcc_lo
	v_add_nc_u32_e32 v2, v1, v2
	s_delay_alu instid0(VALU_DEP_1)
	v_add_nc_u32_e32 v3, v2, v3
	ds_store_b64 v13, v[10:11]
	ds_store_2addr_b32 v15, v0, v1 offset1:1
	ds_store_2addr_b32 v4, v2, v3 offset1:1
	s_waitcnt lgkmcnt(0)
	s_barrier
	buffer_gl0_inv
	s_cbranch_vccnz .LBB19_31
; %bb.7:
	v_mov_b32_e32 v0, 0
	v_or_b32_e32 v4, 1, v5
	v_or_b32_e32 v10, 2, v5
	;; [unrolled: 1-line block ×3, first 2 shown]
	ds_load_b32 v13, v0 offset:4096
	v_add_co_u32 v0, vcc_lo, v8, s6
	v_add_co_ci_u32_e32 v1, vcc_lo, s7, v9, vcc_lo
	v_mov_b32_e32 v9, 0x100
	v_add_co_u32 v2, vcc_lo, v6, s4
	v_add_co_ci_u32_e32 v3, vcc_lo, s5, v7, vcc_lo
	v_add_co_u32 v0, vcc_lo, v0, 12
	v_add_co_ci_u32_e32 v1, vcc_lo, 0, v1, vcc_lo
	s_delay_alu instid0(VALU_DEP_4) | instskip(NEXT) | instid1(VALU_DEP_4)
	v_add_co_u32 v2, vcc_lo, v2, 4
	v_add_co_ci_u32_e32 v3, vcc_lo, 0, v3, vcc_lo
	v_mov_b32_e32 v8, 0x200
	s_mov_b32 s4, s8
	s_branch .LBB19_9
.LBB19_8:                               ;   in Loop: Header=BB19_9 Depth=1
	s_or_b32 exec_lo, exec_lo, s0
	v_add_co_u32 v0, vcc_lo, 0x1000, v0
	v_add_co_ci_u32_e32 v1, vcc_lo, 0, v1, vcc_lo
	v_add_co_u32 v2, vcc_lo, 0x800, v2
	v_add_co_ci_u32_e32 v3, vcc_lo, 0, v3, vcc_lo
	s_addk_i32 s3, 0x400
	s_addk_i32 s4, 0xfc00
	s_cmp_lt_u32 s3, s8
	s_cbranch_scc0 .LBB19_31
.LBB19_9:                               ; =>This Inner Loop Header: Depth=1
	v_add_nc_u32_e32 v14, s3, v12
	s_waitcnt lgkmcnt(0)
	s_delay_alu instid0(VALU_DEP_1) | instskip(SKIP_2) | instid1(VALU_DEP_2)
	v_cmp_gt_u32_e32 vcc_lo, v13, v14
	v_cndmask_b32_e32 v7, 0x300, v9, vcc_lo
	v_cndmask_b32_e64 v6, 0x201, 0, vcc_lo
	v_dual_cndmask_b32 v16, 0x400, v8 :: v_dual_lshlrev_b32 v15, 2, v7
	v_or_b32_e32 v17, 1, v7
	ds_load_b32 v15, v15 offset:2048
	s_waitcnt lgkmcnt(0)
	v_cmp_gt_u32_e32 vcc_lo, v15, v14
	v_dual_cndmask_b32 v6, v17, v6 :: v_dual_cndmask_b32 v7, v16, v7
	s_delay_alu instid0(VALU_DEP_1) | instskip(NEXT) | instid1(VALU_DEP_1)
	v_sub_nc_u32_e32 v15, v7, v6
	v_lshrrev_b16 v16, 15, v15
	s_delay_alu instid0(VALU_DEP_1) | instskip(NEXT) | instid1(VALU_DEP_1)
	v_add_nc_u16 v15, v15, v16
	v_ashrrev_i16 v15, 1, v15
	s_delay_alu instid0(VALU_DEP_1) | instskip(NEXT) | instid1(VALU_DEP_1)
	v_bfe_i32 v15, v15, 0, 16
	v_add_nc_u32_e32 v15, v6, v15
	s_delay_alu instid0(VALU_DEP_1) | instskip(NEXT) | instid1(VALU_DEP_1)
	v_min_i32_e32 v15, 0x3ff, v15
	v_lshlrev_b32_e32 v16, 2, v15
	v_add_nc_u32_e32 v17, 1, v15
	ds_load_b32 v16, v16 offset:2048
	s_waitcnt lgkmcnt(0)
	v_cmp_gt_u32_e32 vcc_lo, v16, v14
	v_dual_cndmask_b32 v6, v17, v6 :: v_dual_cndmask_b32 v7, v7, v15
	s_delay_alu instid0(VALU_DEP_1) | instskip(NEXT) | instid1(VALU_DEP_1)
	v_sub_nc_u32_e32 v15, v7, v6
	v_lshrrev_b16 v16, 15, v15
	s_delay_alu instid0(VALU_DEP_1) | instskip(NEXT) | instid1(VALU_DEP_1)
	v_add_nc_u16 v15, v15, v16
	v_ashrrev_i16 v15, 1, v15
	s_delay_alu instid0(VALU_DEP_1) | instskip(NEXT) | instid1(VALU_DEP_1)
	v_bfe_i32 v15, v15, 0, 16
	v_add_nc_u32_e32 v15, v6, v15
	s_delay_alu instid0(VALU_DEP_1) | instskip(NEXT) | instid1(VALU_DEP_1)
	v_min_i32_e32 v15, 0x3ff, v15
	v_lshlrev_b32_e32 v16, 2, v15
	v_add_nc_u32_e32 v17, 1, v15
	;; [unrolled: 17-line block ×9, first 2 shown]
	ds_load_b32 v15, v15 offset:2048
	s_waitcnt lgkmcnt(0)
	v_cmp_gt_u32_e32 vcc_lo, v15, v14
	v_cndmask_b32_e32 v20, v7, v6, vcc_lo
	s_delay_alu instid0(VALU_DEP_1) | instskip(SKIP_1) | instid1(VALU_DEP_2)
	v_lshlrev_b32_e32 v16, 2, v20
	v_lshl_add_u32 v15, v20, 1, -2
	v_add_nc_u32_e32 v6, 0x7fc, v16
	ds_load_u16 v17, v15
	v_add_nc_u32_e32 v15, 1, v14
	ds_load_2addr_b32 v[6:7], v6 offset1:1
	s_waitcnt lgkmcnt(1)
	v_mov_b32_e32 v19, v17
	s_waitcnt lgkmcnt(0)
	v_sub_nc_u32_e32 v6, v14, v6
	v_cmp_eq_u32_e32 vcc_lo, v15, v7
	s_delay_alu instid0(VALU_DEP_2)
	v_mov_b32_e32 v15, v6
	s_and_saveexec_b32 s0, vcc_lo
	s_cbranch_execz .LBB19_11
; %bb.10:                               ;   in Loop: Header=BB19_9 Depth=1
	v_lshlrev_b32_e32 v15, 1, v20
	ds_load_b32 v16, v16 offset:2052
	ds_load_u16 v19, v15
	v_add_nc_u32_e32 v20, 1, v20
	v_sub_nc_u32_e32 v15, v14, v7
	s_waitcnt lgkmcnt(1)
	v_mov_b32_e32 v7, v16
.LBB19_11:                              ;   in Loop: Header=BB19_9 Depth=1
	s_or_b32 exec_lo, exec_lo, s0
	s_waitcnt lgkmcnt(0)
	v_dual_mov_b32 v21, v19 :: v_dual_add_nc_u32 v18, 2, v14
	v_mov_b32_e32 v16, v15
	s_mov_b32 s0, exec_lo
	s_delay_alu instid0(VALU_DEP_2)
	v_cmpx_eq_u32_e64 v18, v7
	s_cbranch_execz .LBB19_13
; %bb.12:                               ;   in Loop: Header=BB19_9 Depth=1
	v_add_nc_u32_e32 v18, 1, v20
	v_lshlrev_b32_e32 v20, 1, v20
	s_delay_alu instid0(VALU_DEP_2)
	v_lshlrev_b32_e32 v16, 2, v18
	ds_load_b32 v22, v16 offset:2048
	ds_load_u16 v21, v20
	v_sub_nc_u32_e32 v16, v14, v7
	s_waitcnt lgkmcnt(1)
	v_mov_b32_e32 v7, v22
	v_mov_b32_e32 v20, v18
.LBB19_13:                              ;   in Loop: Header=BB19_9 Depth=1
	s_or_b32 exec_lo, exec_lo, s0
	v_add_nc_u32_e32 v22, 3, v14
	v_mov_b32_e32 v18, v16
	s_delay_alu instid0(VALU_DEP_2)
	v_cmp_eq_u32_e32 vcc_lo, v22, v7
	s_waitcnt lgkmcnt(0)
	v_mov_b32_e32 v7, v21
	s_and_saveexec_b32 s0, vcc_lo
	s_cbranch_execz .LBB19_15
; %bb.14:                               ;   in Loop: Header=BB19_9 Depth=1
	v_lshlrev_b32_e32 v7, 2, v20
	v_lshlrev_b32_e32 v18, 1, v20
	ds_load_b32 v20, v7 offset:2048
	ds_load_u16 v7, v18
	s_waitcnt lgkmcnt(1)
	v_sub_nc_u32_e32 v18, v14, v20
.LBB19_15:                              ;   in Loop: Header=BB19_9 Depth=1
	s_or_b32 exec_lo, exec_lo, s0
	s_min_u32 s2, s4, 0x400
	s_delay_alu instid0(SALU_CYCLE_1)
	v_cmp_gt_u32_e32 vcc_lo, s2, v5
	s_and_saveexec_b32 s0, vcc_lo
	s_cbranch_execnz .LBB19_23
; %bb.16:                               ;   in Loop: Header=BB19_9 Depth=1
	s_or_b32 exec_lo, exec_lo, s0
	v_cmp_gt_u32_e64 s0, s2, v4
	s_delay_alu instid0(VALU_DEP_1)
	s_and_saveexec_b32 s1, s0
	s_cbranch_execnz .LBB19_24
.LBB19_17:                              ;   in Loop: Header=BB19_9 Depth=1
	s_or_b32 exec_lo, exec_lo, s1
	v_cmp_gt_u32_e64 s1, s2, v10
	s_delay_alu instid0(VALU_DEP_1)
	s_and_saveexec_b32 s5, s1
	s_cbranch_execnz .LBB19_25
.LBB19_18:                              ;   in Loop: Header=BB19_9 Depth=1
	s_or_b32 exec_lo, exec_lo, s5
	v_cmp_gt_u32_e64 s2, s2, v11
	s_delay_alu instid0(VALU_DEP_1)
	s_and_saveexec_b32 s5, s2
	s_cbranch_execnz .LBB19_26
.LBB19_19:                              ;   in Loop: Header=BB19_9 Depth=1
	s_or_b32 exec_lo, exec_lo, s5
	s_and_saveexec_b32 s5, vcc_lo
	s_cbranch_execnz .LBB19_27
.LBB19_20:                              ;   in Loop: Header=BB19_9 Depth=1
	s_or_b32 exec_lo, exec_lo, s5
	s_and_saveexec_b32 s5, s0
	s_cbranch_execnz .LBB19_28
.LBB19_21:                              ;   in Loop: Header=BB19_9 Depth=1
	s_or_b32 exec_lo, exec_lo, s5
	s_and_saveexec_b32 s0, s1
	s_cbranch_execnz .LBB19_29
.LBB19_22:                              ;   in Loop: Header=BB19_9 Depth=1
	s_or_b32 exec_lo, exec_lo, s0
	s_and_saveexec_b32 s0, s2
	s_cbranch_execz .LBB19_8
	s_branch .LBB19_30
.LBB19_23:                              ;   in Loop: Header=BB19_9 Depth=1
	global_store_b16 v[2:3], v17, off offset:-4
	s_or_b32 exec_lo, exec_lo, s0
	v_cmp_gt_u32_e64 s0, s2, v4
	s_delay_alu instid0(VALU_DEP_1)
	s_and_saveexec_b32 s1, s0
	s_cbranch_execz .LBB19_17
.LBB19_24:                              ;   in Loop: Header=BB19_9 Depth=1
	global_store_b16 v[2:3], v19, off offset:-2
	s_or_b32 exec_lo, exec_lo, s1
	v_cmp_gt_u32_e64 s1, s2, v10
	s_delay_alu instid0(VALU_DEP_1)
	s_and_saveexec_b32 s5, s1
	s_cbranch_execz .LBB19_18
.LBB19_25:                              ;   in Loop: Header=BB19_9 Depth=1
	global_store_b16 v[2:3], v21, off
	s_or_b32 exec_lo, exec_lo, s5
	v_cmp_gt_u32_e64 s2, s2, v11
	s_delay_alu instid0(VALU_DEP_1)
	s_and_saveexec_b32 s5, s2
	s_cbranch_execz .LBB19_19
.LBB19_26:                              ;   in Loop: Header=BB19_9 Depth=1
	s_waitcnt lgkmcnt(0)
	global_store_b16 v[2:3], v7, off offset:2
	s_or_b32 exec_lo, exec_lo, s5
	s_and_saveexec_b32 s5, vcc_lo
	s_cbranch_execz .LBB19_20
.LBB19_27:                              ;   in Loop: Header=BB19_9 Depth=1
	global_store_b32 v[0:1], v6, off offset:-12
	s_or_b32 exec_lo, exec_lo, s5
	s_and_saveexec_b32 s5, s0
	s_cbranch_execz .LBB19_21
.LBB19_28:                              ;   in Loop: Header=BB19_9 Depth=1
	v_add_nc_u32_e32 v6, 1, v15
	global_store_b32 v[0:1], v6, off offset:-8
	s_or_b32 exec_lo, exec_lo, s5
	s_and_saveexec_b32 s0, s1
	s_cbranch_execz .LBB19_22
.LBB19_29:                              ;   in Loop: Header=BB19_9 Depth=1
	v_add_nc_u32_e32 v6, 2, v16
	global_store_b32 v[0:1], v6, off offset:-4
	s_or_b32 exec_lo, exec_lo, s0
	s_and_saveexec_b32 s0, s2
	s_cbranch_execz .LBB19_8
.LBB19_30:                              ;   in Loop: Header=BB19_9 Depth=1
	v_add_nc_u32_e32 v6, 3, v18
	global_store_b32 v[0:1], v6, off
	s_branch .LBB19_8
.LBB19_31:
	s_nop 0
	s_sendmsg sendmsg(MSG_DEALLOC_VGPRS)
	s_endpgm
	.section	.rodata,"a",@progbits
	.p2align	6, 0x0
	.amdhsa_kernel _Z30block_run_length_decode_kernelI6__halfiLj256ELj4ELj4EEvPKT_PKT0_PS1_PS4_
		.amdhsa_group_segment_fixed_size 6144
		.amdhsa_private_segment_fixed_size 0
		.amdhsa_kernarg_size 32
		.amdhsa_user_sgpr_count 15
		.amdhsa_user_sgpr_dispatch_ptr 0
		.amdhsa_user_sgpr_queue_ptr 0
		.amdhsa_user_sgpr_kernarg_segment_ptr 1
		.amdhsa_user_sgpr_dispatch_id 0
		.amdhsa_user_sgpr_private_segment_size 0
		.amdhsa_wavefront_size32 1
		.amdhsa_uses_dynamic_stack 0
		.amdhsa_enable_private_segment 0
		.amdhsa_system_sgpr_workgroup_id_x 1
		.amdhsa_system_sgpr_workgroup_id_y 0
		.amdhsa_system_sgpr_workgroup_id_z 0
		.amdhsa_system_sgpr_workgroup_info 0
		.amdhsa_system_vgpr_workitem_id 0
		.amdhsa_next_free_vgpr 23
		.amdhsa_next_free_sgpr 16
		.amdhsa_reserve_vcc 1
		.amdhsa_float_round_mode_32 0
		.amdhsa_float_round_mode_16_64 0
		.amdhsa_float_denorm_mode_32 3
		.amdhsa_float_denorm_mode_16_64 3
		.amdhsa_dx10_clamp 1
		.amdhsa_ieee_mode 1
		.amdhsa_fp16_overflow 0
		.amdhsa_workgroup_processor_mode 1
		.amdhsa_memory_ordered 1
		.amdhsa_forward_progress 0
		.amdhsa_shared_vgpr_count 0
		.amdhsa_exception_fp_ieee_invalid_op 0
		.amdhsa_exception_fp_denorm_src 0
		.amdhsa_exception_fp_ieee_div_zero 0
		.amdhsa_exception_fp_ieee_overflow 0
		.amdhsa_exception_fp_ieee_underflow 0
		.amdhsa_exception_fp_ieee_inexact 0
		.amdhsa_exception_int_div_zero 0
	.end_amdhsa_kernel
	.section	.text._Z30block_run_length_decode_kernelI6__halfiLj256ELj4ELj4EEvPKT_PKT0_PS1_PS4_,"axG",@progbits,_Z30block_run_length_decode_kernelI6__halfiLj256ELj4ELj4EEvPKT_PKT0_PS1_PS4_,comdat
.Lfunc_end19:
	.size	_Z30block_run_length_decode_kernelI6__halfiLj256ELj4ELj4EEvPKT_PKT0_PS1_PS4_, .Lfunc_end19-_Z30block_run_length_decode_kernelI6__halfiLj256ELj4ELj4EEvPKT_PKT0_PS1_PS4_
                                        ; -- End function
	.section	.AMDGPU.csdata,"",@progbits
; Kernel info:
; codeLenInByte = 2416
; NumSgprs: 18
; NumVgprs: 23
; ScratchSize: 0
; MemoryBound: 0
; FloatMode: 240
; IeeeMode: 1
; LDSByteSize: 6144 bytes/workgroup (compile time only)
; SGPRBlocks: 2
; VGPRBlocks: 2
; NumSGPRsForWavesPerEU: 18
; NumVGPRsForWavesPerEU: 23
; Occupancy: 16
; WaveLimiterHint : 0
; COMPUTE_PGM_RSRC2:SCRATCH_EN: 0
; COMPUTE_PGM_RSRC2:USER_SGPR: 15
; COMPUTE_PGM_RSRC2:TRAP_HANDLER: 0
; COMPUTE_PGM_RSRC2:TGID_X_EN: 1
; COMPUTE_PGM_RSRC2:TGID_Y_EN: 0
; COMPUTE_PGM_RSRC2:TGID_Z_EN: 0
; COMPUTE_PGM_RSRC2:TIDIG_COMP_CNT: 0
	.section	.text._Z30block_run_length_decode_kernelIfiLj256ELj4ELj4EEvPKT_PKT0_PS0_PS3_,"axG",@progbits,_Z30block_run_length_decode_kernelIfiLj256ELj4ELj4EEvPKT_PKT0_PS0_PS3_,comdat
	.protected	_Z30block_run_length_decode_kernelIfiLj256ELj4ELj4EEvPKT_PKT0_PS0_PS3_ ; -- Begin function _Z30block_run_length_decode_kernelIfiLj256ELj4ELj4EEvPKT_PKT0_PS0_PS3_
	.globl	_Z30block_run_length_decode_kernelIfiLj256ELj4ELj4EEvPKT_PKT0_PS0_PS3_
	.p2align	8
	.type	_Z30block_run_length_decode_kernelIfiLj256ELj4ELj4EEvPKT_PKT0_PS0_PS3_,@function
_Z30block_run_length_decode_kernelIfiLj256ELj4ELj4EEvPKT_PKT0_PS0_PS3_: ; @_Z30block_run_length_decode_kernelIfiLj256ELj4ELj4EEvPKT_PKT0_PS0_PS3_
; %bb.0:
	s_load_b256 s[0:7], s[0:1], 0x0
	v_lshlrev_b32_e32 v12, 2, v0
	v_mov_b32_e32 v10, 0
	v_mbcnt_lo_u32_b32 v13, -1, 0
	v_or_b32_e32 v16, 31, v0
	s_delay_alu instid0(VALU_DEP_4) | instskip(NEXT) | instid1(VALU_DEP_1)
	v_lshl_or_b32 v9, s15, 10, v12
	v_lshlrev_b64 v[10:11], 2, v[9:10]
	s_waitcnt lgkmcnt(0)
	s_delay_alu instid0(VALU_DEP_1) | instskip(NEXT) | instid1(VALU_DEP_2)
	v_add_co_u32 v1, vcc_lo, s2, v10
	v_add_co_ci_u32_e32 v2, vcc_lo, s3, v11, vcc_lo
	global_load_b128 v[5:8], v[1:2], off
	v_add_co_u32 v1, vcc_lo, s0, v10
	v_add_co_ci_u32_e32 v2, vcc_lo, s1, v11, vcc_lo
	s_mov_b32 s0, exec_lo
	global_load_b128 v[1:4], v[1:2], off
	s_waitcnt vmcnt(1)
	v_add_nc_u32_e32 v14, v6, v5
	s_delay_alu instid0(VALU_DEP_1) | instskip(SKIP_1) | instid1(VALU_DEP_2)
	v_add3_u32 v8, v14, v7, v8
	v_and_b32_e32 v14, 15, v13
	v_mov_b32_dpp v15, v8 row_shr:1 row_mask:0xf bank_mask:0xf
	s_delay_alu instid0(VALU_DEP_2) | instskip(NEXT) | instid1(VALU_DEP_2)
	v_cmp_ne_u32_e32 vcc_lo, 0, v14
	v_cndmask_b32_e32 v15, 0, v15, vcc_lo
	v_cmp_lt_u32_e32 vcc_lo, 1, v14
	s_delay_alu instid0(VALU_DEP_2) | instskip(NEXT) | instid1(VALU_DEP_1)
	v_add_nc_u32_e32 v8, v15, v8
	v_mov_b32_dpp v15, v8 row_shr:2 row_mask:0xf bank_mask:0xf
	s_delay_alu instid0(VALU_DEP_1) | instskip(SKIP_1) | instid1(VALU_DEP_2)
	v_cndmask_b32_e32 v15, 0, v15, vcc_lo
	v_cmp_lt_u32_e32 vcc_lo, 3, v14
	v_add_nc_u32_e32 v8, v8, v15
	s_delay_alu instid0(VALU_DEP_1) | instskip(NEXT) | instid1(VALU_DEP_1)
	v_mov_b32_dpp v15, v8 row_shr:4 row_mask:0xf bank_mask:0xf
	v_cndmask_b32_e32 v15, 0, v15, vcc_lo
	v_cmp_lt_u32_e32 vcc_lo, 7, v14
	s_delay_alu instid0(VALU_DEP_2) | instskip(NEXT) | instid1(VALU_DEP_1)
	v_add_nc_u32_e32 v8, v8, v15
	v_mov_b32_dpp v15, v8 row_shr:8 row_mask:0xf bank_mask:0xf
	s_delay_alu instid0(VALU_DEP_1) | instskip(SKIP_1) | instid1(VALU_DEP_2)
	v_cndmask_b32_e32 v14, 0, v15, vcc_lo
	v_bfe_i32 v15, v13, 4, 1
	v_add_nc_u32_e32 v8, v8, v14
	ds_swizzle_b32 v14, v8 offset:swizzle(BROADCAST,32,15)
	s_waitcnt lgkmcnt(0)
	v_and_b32_e32 v15, v15, v14
	v_lshrrev_b32_e32 v14, 5, v0
	s_delay_alu instid0(VALU_DEP_2)
	v_add_nc_u32_e32 v8, v8, v15
	v_cmpx_eq_u32_e64 v16, v0
	s_cbranch_execz .LBB20_2
; %bb.1:
	s_delay_alu instid0(VALU_DEP_3)
	v_lshlrev_b32_e32 v15, 2, v14
	ds_store_b32 v15, v8
.LBB20_2:
	s_or_b32 exec_lo, exec_lo, s0
	s_delay_alu instid0(SALU_CYCLE_1)
	s_mov_b32 s0, exec_lo
	s_waitcnt vmcnt(0) lgkmcnt(0)
	s_barrier
	buffer_gl0_inv
	v_cmpx_gt_u32_e32 8, v0
	s_cbranch_execz .LBB20_4
; %bb.3:
	ds_load_b32 v15, v12
	v_and_b32_e32 v16, 7, v13
	s_delay_alu instid0(VALU_DEP_1) | instskip(SKIP_2) | instid1(VALU_DEP_1)
	v_cmp_ne_u32_e32 vcc_lo, 0, v16
	s_waitcnt lgkmcnt(0)
	v_mov_b32_dpp v17, v15 row_shr:1 row_mask:0xf bank_mask:0xf
	v_cndmask_b32_e32 v17, 0, v17, vcc_lo
	v_cmp_lt_u32_e32 vcc_lo, 1, v16
	s_delay_alu instid0(VALU_DEP_2) | instskip(NEXT) | instid1(VALU_DEP_1)
	v_add_nc_u32_e32 v15, v17, v15
	v_mov_b32_dpp v17, v15 row_shr:2 row_mask:0xf bank_mask:0xf
	s_delay_alu instid0(VALU_DEP_1) | instskip(SKIP_1) | instid1(VALU_DEP_2)
	v_cndmask_b32_e32 v17, 0, v17, vcc_lo
	v_cmp_lt_u32_e32 vcc_lo, 3, v16
	v_add_nc_u32_e32 v15, v15, v17
	s_delay_alu instid0(VALU_DEP_1) | instskip(NEXT) | instid1(VALU_DEP_1)
	v_mov_b32_dpp v17, v15 row_shr:4 row_mask:0xf bank_mask:0xf
	v_cndmask_b32_e32 v16, 0, v17, vcc_lo
	s_delay_alu instid0(VALU_DEP_1)
	v_add_nc_u32_e32 v15, v15, v16
	ds_store_b32 v12, v15
.LBB20_4:
	s_or_b32 exec_lo, exec_lo, s0
	v_dual_mov_b32 v15, 0 :: v_dual_mov_b32 v16, 0
	s_mov_b32 s0, exec_lo
	s_waitcnt lgkmcnt(0)
	s_barrier
	buffer_gl0_inv
	v_cmpx_lt_u32_e32 31, v0
	s_cbranch_execz .LBB20_6
; %bb.5:
	v_lshl_add_u32 v14, v14, 2, -4
	ds_load_b32 v16, v14
.LBB20_6:
	s_or_b32 exec_lo, exec_lo, s0
	v_add_nc_u32_e32 v14, -1, v13
	s_waitcnt lgkmcnt(0)
	v_add_nc_u32_e32 v8, v16, v8
	s_mov_b32 s8, 0
	s_delay_alu instid0(VALU_DEP_2) | instskip(SKIP_2) | instid1(VALU_DEP_2)
	v_cmp_gt_i32_e32 vcc_lo, 0, v14
	v_cndmask_b32_e32 v14, v14, v13, vcc_lo
	v_cmp_eq_u32_e32 vcc_lo, 0, v13
	v_lshlrev_b32_e32 v14, 2, v14
	ds_bpermute_b32 v8, v14, v8
	ds_load_b32 v14, v15 offset:28
	s_waitcnt lgkmcnt(0)
	s_barrier
	buffer_gl0_inv
	v_cndmask_b32_e32 v8, v8, v16, vcc_lo
	v_cmp_ne_u32_e32 vcc_lo, 0, v0
	v_readfirstlane_b32 s9, v14
	s_delay_alu instid0(VALU_DEP_3) | instskip(SKIP_2) | instid1(VALU_DEP_3)
	v_cndmask_b32_e32 v0, 0, v8, vcc_lo
	v_lshlrev_b32_e32 v8, 2, v12
	v_cmp_eq_u32_e32 vcc_lo, 0, v14
	v_add_nc_u32_e32 v5, v0, v5
	s_delay_alu instid0(VALU_DEP_3) | instskip(SKIP_4) | instid1(VALU_DEP_1)
	v_or_b32_e32 v13, 0x1000, v8
	ds_store_2addr_b32 v8, v1, v2 offset1:1
	v_add_nc_u32_e32 v1, 0x1008, v8
	s_and_b32 vcc_lo, exec_lo, vcc_lo
	v_add_nc_u32_e32 v6, v5, v6
	v_add_nc_u32_e32 v2, v6, v7
	ds_store_2addr_b32 v8, v3, v4 offset0:2 offset1:3
	ds_store_2addr_b32 v13, v0, v5 offset1:1
	ds_store_2addr_b32 v1, v6, v2 offset1:1
	s_waitcnt lgkmcnt(0)
	s_barrier
	buffer_gl0_inv
	s_cbranch_vccnz .LBB20_31
; %bb.7:
	v_dual_mov_b32 v0, 0 :: v_dual_mov_b32 v7, 0x200
	v_or_b32_e32 v4, 1, v9
	v_or_b32_e32 v5, 2, v9
	;; [unrolled: 1-line block ×3, first 2 shown]
	ds_load_b32 v3, v0 offset:6144
	v_mov_b32_e32 v8, 0x100
	s_mov_b32 s10, s9
	s_branch .LBB20_9
.LBB20_8:                               ;   in Loop: Header=BB20_9 Depth=1
	s_or_b32 exec_lo, exec_lo, s0
	s_addk_i32 s8, 0x400
	s_addk_i32 s10, 0xfc00
	s_add_u32 s6, s6, 0x1000
	s_addc_u32 s7, s7, 0
	s_add_u32 s4, s4, 0x1000
	s_addc_u32 s5, s5, 0
	s_cmp_lt_u32 s8, s9
	s_cbranch_scc0 .LBB20_31
.LBB20_9:                               ; =>This Inner Loop Header: Depth=1
	v_add_nc_u32_e32 v2, s8, v12
	s_waitcnt lgkmcnt(0)
	s_delay_alu instid0(VALU_DEP_1) | instskip(SKIP_2) | instid1(VALU_DEP_2)
	v_cmp_gt_u32_e32 vcc_lo, v3, v2
	v_cndmask_b32_e32 v1, 0x300, v8, vcc_lo
	v_cndmask_b32_e64 v0, 0x201, 0, vcc_lo
	v_dual_cndmask_b32 v14, 0x400, v7 :: v_dual_lshlrev_b32 v13, 2, v1
	v_or_b32_e32 v15, 1, v1
	ds_load_b32 v13, v13 offset:4096
	s_waitcnt lgkmcnt(0)
	v_cmp_gt_u32_e32 vcc_lo, v13, v2
	v_dual_cndmask_b32 v0, v15, v0 :: v_dual_cndmask_b32 v1, v14, v1
	s_delay_alu instid0(VALU_DEP_1) | instskip(NEXT) | instid1(VALU_DEP_1)
	v_sub_nc_u32_e32 v13, v1, v0
	v_lshrrev_b16 v14, 15, v13
	s_delay_alu instid0(VALU_DEP_1) | instskip(NEXT) | instid1(VALU_DEP_1)
	v_add_nc_u16 v13, v13, v14
	v_ashrrev_i16 v13, 1, v13
	s_delay_alu instid0(VALU_DEP_1) | instskip(NEXT) | instid1(VALU_DEP_1)
	v_bfe_i32 v13, v13, 0, 16
	v_add_nc_u32_e32 v13, v0, v13
	s_delay_alu instid0(VALU_DEP_1) | instskip(NEXT) | instid1(VALU_DEP_1)
	v_min_i32_e32 v13, 0x3ff, v13
	v_lshlrev_b32_e32 v14, 2, v13
	v_add_nc_u32_e32 v15, 1, v13
	ds_load_b32 v14, v14 offset:4096
	s_waitcnt lgkmcnt(0)
	v_cmp_gt_u32_e32 vcc_lo, v14, v2
	v_dual_cndmask_b32 v0, v15, v0 :: v_dual_cndmask_b32 v1, v1, v13
	s_delay_alu instid0(VALU_DEP_1) | instskip(NEXT) | instid1(VALU_DEP_1)
	v_sub_nc_u32_e32 v13, v1, v0
	v_lshrrev_b16 v14, 15, v13
	s_delay_alu instid0(VALU_DEP_1) | instskip(NEXT) | instid1(VALU_DEP_1)
	v_add_nc_u16 v13, v13, v14
	v_ashrrev_i16 v13, 1, v13
	s_delay_alu instid0(VALU_DEP_1) | instskip(NEXT) | instid1(VALU_DEP_1)
	v_bfe_i32 v13, v13, 0, 16
	v_add_nc_u32_e32 v13, v0, v13
	s_delay_alu instid0(VALU_DEP_1) | instskip(NEXT) | instid1(VALU_DEP_1)
	v_min_i32_e32 v13, 0x3ff, v13
	v_lshlrev_b32_e32 v14, 2, v13
	v_add_nc_u32_e32 v15, 1, v13
	;; [unrolled: 17-line block ×9, first 2 shown]
	ds_load_b32 v13, v13 offset:4096
	s_waitcnt lgkmcnt(0)
	v_cmp_gt_u32_e32 vcc_lo, v13, v2
	v_cndmask_b32_e32 v19, v1, v0, vcc_lo
	s_delay_alu instid0(VALU_DEP_1) | instskip(NEXT) | instid1(VALU_DEP_1)
	v_lshlrev_b32_e32 v15, 2, v19
	v_add_nc_u32_e32 v0, 0xffc, v15
	v_add_nc_u32_e32 v13, -4, v15
	ds_load_2addr_b32 v[0:1], v0 offset1:1
	ds_load_b32 v17, v13
	v_add_nc_u32_e32 v13, 1, v2
	s_waitcnt lgkmcnt(1)
	v_sub_nc_u32_e32 v14, v2, v0
	s_delay_alu instid0(VALU_DEP_2) | instskip(SKIP_1) | instid1(VALU_DEP_2)
	v_cmp_eq_u32_e32 vcc_lo, v13, v1
	s_waitcnt lgkmcnt(0)
	v_dual_mov_b32 v18, v17 :: v_dual_mov_b32 v13, v14
	s_and_saveexec_b32 s0, vcc_lo
	s_cbranch_execz .LBB20_11
; %bb.10:                               ;   in Loop: Header=BB20_9 Depth=1
	ds_load_b32 v0, v15 offset:4100
	ds_load_b32 v18, v15
	v_add_nc_u32_e32 v19, 1, v19
	v_sub_nc_u32_e32 v13, v2, v1
	s_waitcnt lgkmcnt(1)
	v_mov_b32_e32 v1, v0
.LBB20_11:                              ;   in Loop: Header=BB20_9 Depth=1
	s_or_b32 exec_lo, exec_lo, s0
	s_delay_alu instid0(VALU_DEP_1) | instskip(SKIP_3) | instid1(VALU_DEP_2)
	v_dual_mov_b32 v15, v13 :: v_dual_add_nc_u32 v0, 2, v2
	s_waitcnt lgkmcnt(0)
	v_mov_b32_e32 v20, v18
	s_mov_b32 s0, exec_lo
	v_cmpx_eq_u32_e64 v0, v1
	s_cbranch_execz .LBB20_13
; %bb.12:                               ;   in Loop: Header=BB20_9 Depth=1
	v_lshlrev_b32_e32 v0, 2, v19
	v_add_nc_u32_e32 v19, 1, v19
	v_sub_nc_u32_e32 v15, v2, v1
	ds_load_b32 v16, v0 offset:4100
	ds_load_b32 v20, v0
	s_waitcnt lgkmcnt(1)
	v_mov_b32_e32 v1, v16
.LBB20_13:                              ;   in Loop: Header=BB20_9 Depth=1
	s_or_b32 exec_lo, exec_lo, s0
	v_add_nc_u32_e32 v0, 3, v2
	v_mov_b32_e32 v16, v15
	s_delay_alu instid0(VALU_DEP_2)
	v_cmp_eq_u32_e32 vcc_lo, v0, v1
	s_waitcnt lgkmcnt(0)
	v_mov_b32_e32 v0, v20
	s_and_saveexec_b32 s0, vcc_lo
	s_cbranch_execz .LBB20_15
; %bb.14:                               ;   in Loop: Header=BB20_9 Depth=1
	v_lshlrev_b32_e32 v0, 2, v19
	ds_load_2addr_stride64_b32 v[0:1], v0 offset1:16
	s_waitcnt lgkmcnt(0)
	v_sub_nc_u32_e32 v16, v2, v1
.LBB20_15:                              ;   in Loop: Header=BB20_9 Depth=1
	s_or_b32 exec_lo, exec_lo, s0
	v_add_co_u32 v1, vcc_lo, s4, v10
	s_min_u32 s2, s10, 0x400
	v_add_co_ci_u32_e32 v2, vcc_lo, s5, v11, vcc_lo
	v_cmp_gt_u32_e32 vcc_lo, s2, v9
	s_and_saveexec_b32 s0, vcc_lo
	s_cbranch_execnz .LBB20_24
; %bb.16:                               ;   in Loop: Header=BB20_9 Depth=1
	s_or_b32 exec_lo, exec_lo, s0
	v_cmp_gt_u32_e64 s0, s2, v4
	s_delay_alu instid0(VALU_DEP_1)
	s_and_saveexec_b32 s1, s0
	s_cbranch_execnz .LBB20_25
.LBB20_17:                              ;   in Loop: Header=BB20_9 Depth=1
	s_or_b32 exec_lo, exec_lo, s1
	v_cmp_gt_u32_e64 s1, s2, v5
	s_delay_alu instid0(VALU_DEP_1)
	s_and_saveexec_b32 s3, s1
	s_cbranch_execnz .LBB20_26
.LBB20_18:                              ;   in Loop: Header=BB20_9 Depth=1
	s_or_b32 exec_lo, exec_lo, s3
	v_cmp_gt_u32_e64 s2, s2, v6
	s_delay_alu instid0(VALU_DEP_1)
	s_and_saveexec_b32 s3, s2
	s_cbranch_execz .LBB20_20
.LBB20_19:                              ;   in Loop: Header=BB20_9 Depth=1
	global_store_b32 v[1:2], v0, off offset:12
.LBB20_20:                              ;   in Loop: Header=BB20_9 Depth=1
	s_or_b32 exec_lo, exec_lo, s3
	v_add_co_u32 v0, s3, s6, v10
	s_delay_alu instid0(VALU_DEP_1)
	v_add_co_ci_u32_e64 v1, s3, s7, v11, s3
	s_and_saveexec_b32 s3, vcc_lo
	s_cbranch_execnz .LBB20_27
; %bb.21:                               ;   in Loop: Header=BB20_9 Depth=1
	s_or_b32 exec_lo, exec_lo, s3
	s_and_saveexec_b32 s3, s0
	s_cbranch_execnz .LBB20_28
.LBB20_22:                              ;   in Loop: Header=BB20_9 Depth=1
	s_or_b32 exec_lo, exec_lo, s3
	s_and_saveexec_b32 s0, s1
	s_cbranch_execnz .LBB20_29
.LBB20_23:                              ;   in Loop: Header=BB20_9 Depth=1
	s_or_b32 exec_lo, exec_lo, s0
	s_and_saveexec_b32 s0, s2
	s_cbranch_execz .LBB20_8
	s_branch .LBB20_30
.LBB20_24:                              ;   in Loop: Header=BB20_9 Depth=1
	global_store_b32 v[1:2], v17, off
	s_or_b32 exec_lo, exec_lo, s0
	v_cmp_gt_u32_e64 s0, s2, v4
	s_delay_alu instid0(VALU_DEP_1)
	s_and_saveexec_b32 s1, s0
	s_cbranch_execz .LBB20_17
.LBB20_25:                              ;   in Loop: Header=BB20_9 Depth=1
	global_store_b32 v[1:2], v18, off offset:4
	s_or_b32 exec_lo, exec_lo, s1
	v_cmp_gt_u32_e64 s1, s2, v5
	s_delay_alu instid0(VALU_DEP_1)
	s_and_saveexec_b32 s3, s1
	s_cbranch_execz .LBB20_18
.LBB20_26:                              ;   in Loop: Header=BB20_9 Depth=1
	global_store_b32 v[1:2], v20, off offset:8
	s_or_b32 exec_lo, exec_lo, s3
	v_cmp_gt_u32_e64 s2, s2, v6
	s_delay_alu instid0(VALU_DEP_1)
	s_and_saveexec_b32 s3, s2
	s_cbranch_execnz .LBB20_19
	s_branch .LBB20_20
.LBB20_27:                              ;   in Loop: Header=BB20_9 Depth=1
	global_store_b32 v[0:1], v14, off
	s_or_b32 exec_lo, exec_lo, s3
	s_and_saveexec_b32 s3, s0
	s_cbranch_execz .LBB20_22
.LBB20_28:                              ;   in Loop: Header=BB20_9 Depth=1
	v_add_nc_u32_e32 v2, 1, v13
	global_store_b32 v[0:1], v2, off offset:4
	s_or_b32 exec_lo, exec_lo, s3
	s_and_saveexec_b32 s0, s1
	s_cbranch_execz .LBB20_23
.LBB20_29:                              ;   in Loop: Header=BB20_9 Depth=1
	v_add_nc_u32_e32 v2, 2, v15
	global_store_b32 v[0:1], v2, off offset:8
	s_or_b32 exec_lo, exec_lo, s0
	s_and_saveexec_b32 s0, s2
	s_cbranch_execz .LBB20_8
.LBB20_30:                              ;   in Loop: Header=BB20_9 Depth=1
	v_add_nc_u32_e32 v2, 3, v16
	global_store_b32 v[0:1], v2, off offset:12
	s_branch .LBB20_8
.LBB20_31:
	s_nop 0
	s_sendmsg sendmsg(MSG_DEALLOC_VGPRS)
	s_endpgm
	.section	.rodata,"a",@progbits
	.p2align	6, 0x0
	.amdhsa_kernel _Z30block_run_length_decode_kernelIfiLj256ELj4ELj4EEvPKT_PKT0_PS0_PS3_
		.amdhsa_group_segment_fixed_size 8192
		.amdhsa_private_segment_fixed_size 0
		.amdhsa_kernarg_size 32
		.amdhsa_user_sgpr_count 15
		.amdhsa_user_sgpr_dispatch_ptr 0
		.amdhsa_user_sgpr_queue_ptr 0
		.amdhsa_user_sgpr_kernarg_segment_ptr 1
		.amdhsa_user_sgpr_dispatch_id 0
		.amdhsa_user_sgpr_private_segment_size 0
		.amdhsa_wavefront_size32 1
		.amdhsa_uses_dynamic_stack 0
		.amdhsa_enable_private_segment 0
		.amdhsa_system_sgpr_workgroup_id_x 1
		.amdhsa_system_sgpr_workgroup_id_y 0
		.amdhsa_system_sgpr_workgroup_id_z 0
		.amdhsa_system_sgpr_workgroup_info 0
		.amdhsa_system_vgpr_workitem_id 0
		.amdhsa_next_free_vgpr 21
		.amdhsa_next_free_sgpr 16
		.amdhsa_reserve_vcc 1
		.amdhsa_float_round_mode_32 0
		.amdhsa_float_round_mode_16_64 0
		.amdhsa_float_denorm_mode_32 3
		.amdhsa_float_denorm_mode_16_64 3
		.amdhsa_dx10_clamp 1
		.amdhsa_ieee_mode 1
		.amdhsa_fp16_overflow 0
		.amdhsa_workgroup_processor_mode 1
		.amdhsa_memory_ordered 1
		.amdhsa_forward_progress 0
		.amdhsa_shared_vgpr_count 0
		.amdhsa_exception_fp_ieee_invalid_op 0
		.amdhsa_exception_fp_denorm_src 0
		.amdhsa_exception_fp_ieee_div_zero 0
		.amdhsa_exception_fp_ieee_overflow 0
		.amdhsa_exception_fp_ieee_underflow 0
		.amdhsa_exception_fp_ieee_inexact 0
		.amdhsa_exception_int_div_zero 0
	.end_amdhsa_kernel
	.section	.text._Z30block_run_length_decode_kernelIfiLj256ELj4ELj4EEvPKT_PKT0_PS0_PS3_,"axG",@progbits,_Z30block_run_length_decode_kernelIfiLj256ELj4ELj4EEvPKT_PKT0_PS0_PS3_,comdat
.Lfunc_end20:
	.size	_Z30block_run_length_decode_kernelIfiLj256ELj4ELj4EEvPKT_PKT0_PS0_PS3_, .Lfunc_end20-_Z30block_run_length_decode_kernelIfiLj256ELj4ELj4EEvPKT_PKT0_PS0_PS3_
                                        ; -- End function
	.section	.AMDGPU.csdata,"",@progbits
; Kernel info:
; codeLenInByte = 2328
; NumSgprs: 18
; NumVgprs: 21
; ScratchSize: 0
; MemoryBound: 0
; FloatMode: 240
; IeeeMode: 1
; LDSByteSize: 8192 bytes/workgroup (compile time only)
; SGPRBlocks: 2
; VGPRBlocks: 2
; NumSGPRsForWavesPerEU: 18
; NumVGPRsForWavesPerEU: 21
; Occupancy: 16
; WaveLimiterHint : 0
; COMPUTE_PGM_RSRC2:SCRATCH_EN: 0
; COMPUTE_PGM_RSRC2:USER_SGPR: 15
; COMPUTE_PGM_RSRC2:TRAP_HANDLER: 0
; COMPUTE_PGM_RSRC2:TGID_X_EN: 1
; COMPUTE_PGM_RSRC2:TGID_Y_EN: 0
; COMPUTE_PGM_RSRC2:TGID_Z_EN: 0
; COMPUTE_PGM_RSRC2:TIDIG_COMP_CNT: 0
	.section	.text._Z30block_run_length_decode_kernelIcxLj256ELj4ELj4EEvPKT_PKT0_PS0_PS3_,"axG",@progbits,_Z30block_run_length_decode_kernelIcxLj256ELj4ELj4EEvPKT_PKT0_PS0_PS3_,comdat
	.protected	_Z30block_run_length_decode_kernelIcxLj256ELj4ELj4EEvPKT_PKT0_PS0_PS3_ ; -- Begin function _Z30block_run_length_decode_kernelIcxLj256ELj4ELj4EEvPKT_PKT0_PS0_PS3_
	.globl	_Z30block_run_length_decode_kernelIcxLj256ELj4ELj4EEvPKT_PKT0_PS0_PS3_
	.p2align	8
	.type	_Z30block_run_length_decode_kernelIcxLj256ELj4ELj4EEvPKT_PKT0_PS0_PS3_,@function
_Z30block_run_length_decode_kernelIcxLj256ELj4ELj4EEvPKT_PKT0_PS0_PS3_: ; @_Z30block_run_length_decode_kernelIcxLj256ELj4ELj4EEvPKT_PKT0_PS0_PS3_
; %bb.0:
	s_load_b256 s[0:7], s[0:1], 0x0
	v_lshlrev_b32_e32 v12, 2, v0
	v_mov_b32_e32 v10, 0
	v_or_b32_e32 v13, 31, v0
	s_delay_alu instid0(VALU_DEP_3) | instskip(NEXT) | instid1(VALU_DEP_1)
	v_lshl_or_b32 v9, s15, 10, v12
	v_lshlrev_b64 v[10:11], 3, v[9:10]
	s_waitcnt lgkmcnt(0)
	s_delay_alu instid0(VALU_DEP_1) | instskip(NEXT) | instid1(VALU_DEP_2)
	v_add_co_u32 v1, vcc_lo, s2, v10
	v_add_co_ci_u32_e32 v2, vcc_lo, s3, v11, vcc_lo
	s_clause 0x1
	global_load_b128 v[5:8], v[1:2], off
	global_load_b128 v[1:4], v[1:2], off offset:16
	global_load_b32 v2, v9, s[0:1]
	s_waitcnt vmcnt(1)
	v_mbcnt_lo_u32_b32 v4, -1, 0
	s_mov_b32 s0, exec_lo
	v_add_nc_u32_e32 v6, v7, v5
	s_delay_alu instid0(VALU_DEP_1) | instskip(NEXT) | instid1(VALU_DEP_3)
	v_add3_u32 v3, v6, v1, v3
	v_and_b32_e32 v6, 15, v4
	s_delay_alu instid0(VALU_DEP_2) | instskip(NEXT) | instid1(VALU_DEP_2)
	v_mov_b32_dpp v8, v3 row_shr:1 row_mask:0xf bank_mask:0xf
	v_cmp_ne_u32_e32 vcc_lo, 0, v6
	s_delay_alu instid0(VALU_DEP_2) | instskip(SKIP_1) | instid1(VALU_DEP_2)
	v_cndmask_b32_e32 v8, 0, v8, vcc_lo
	v_cmp_lt_u32_e32 vcc_lo, 1, v6
	v_add_nc_u32_e32 v3, v8, v3
	s_delay_alu instid0(VALU_DEP_1) | instskip(NEXT) | instid1(VALU_DEP_1)
	v_mov_b32_dpp v8, v3 row_shr:2 row_mask:0xf bank_mask:0xf
	v_cndmask_b32_e32 v8, 0, v8, vcc_lo
	v_cmp_lt_u32_e32 vcc_lo, 3, v6
	s_delay_alu instid0(VALU_DEP_2) | instskip(NEXT) | instid1(VALU_DEP_1)
	v_add_nc_u32_e32 v3, v3, v8
	v_mov_b32_dpp v8, v3 row_shr:4 row_mask:0xf bank_mask:0xf
	s_delay_alu instid0(VALU_DEP_1) | instskip(SKIP_1) | instid1(VALU_DEP_2)
	v_cndmask_b32_e32 v8, 0, v8, vcc_lo
	v_cmp_lt_u32_e32 vcc_lo, 7, v6
	v_add_nc_u32_e32 v3, v3, v8
	s_delay_alu instid0(VALU_DEP_1) | instskip(NEXT) | instid1(VALU_DEP_1)
	v_mov_b32_dpp v8, v3 row_shr:8 row_mask:0xf bank_mask:0xf
	v_cndmask_b32_e32 v6, 0, v8, vcc_lo
	v_bfe_i32 v8, v4, 4, 1
	s_delay_alu instid0(VALU_DEP_2) | instskip(SKIP_4) | instid1(VALU_DEP_2)
	v_add_nc_u32_e32 v3, v3, v6
	ds_swizzle_b32 v6, v3 offset:swizzle(BROADCAST,32,15)
	s_waitcnt lgkmcnt(0)
	v_and_b32_e32 v8, v8, v6
	v_lshrrev_b32_e32 v6, 5, v0
	v_add_nc_u32_e32 v3, v3, v8
	v_cmpx_eq_u32_e64 v13, v0
	s_cbranch_execz .LBB21_2
; %bb.1:
	s_delay_alu instid0(VALU_DEP_3)
	v_lshlrev_b32_e32 v8, 2, v6
	ds_store_b32 v8, v3
.LBB21_2:
	s_or_b32 exec_lo, exec_lo, s0
	s_delay_alu instid0(SALU_CYCLE_1)
	s_mov_b32 s0, exec_lo
	s_waitcnt vmcnt(0) lgkmcnt(0)
	s_barrier
	buffer_gl0_inv
	v_cmpx_gt_u32_e32 8, v0
	s_cbranch_execz .LBB21_4
; %bb.3:
	ds_load_b32 v8, v12
	s_waitcnt lgkmcnt(0)
	v_mov_b32_dpp v14, v8 row_shr:1 row_mask:0xf bank_mask:0xf
	v_and_b32_e32 v13, 7, v4
	s_delay_alu instid0(VALU_DEP_1) | instskip(NEXT) | instid1(VALU_DEP_3)
	v_cmp_ne_u32_e32 vcc_lo, 0, v13
	v_cndmask_b32_e32 v14, 0, v14, vcc_lo
	v_cmp_lt_u32_e32 vcc_lo, 1, v13
	s_delay_alu instid0(VALU_DEP_2) | instskip(NEXT) | instid1(VALU_DEP_1)
	v_add_nc_u32_e32 v8, v14, v8
	v_mov_b32_dpp v14, v8 row_shr:2 row_mask:0xf bank_mask:0xf
	s_delay_alu instid0(VALU_DEP_1) | instskip(SKIP_1) | instid1(VALU_DEP_2)
	v_cndmask_b32_e32 v14, 0, v14, vcc_lo
	v_cmp_lt_u32_e32 vcc_lo, 3, v13
	v_add_nc_u32_e32 v8, v8, v14
	s_delay_alu instid0(VALU_DEP_1) | instskip(NEXT) | instid1(VALU_DEP_1)
	v_mov_b32_dpp v14, v8 row_shr:4 row_mask:0xf bank_mask:0xf
	v_cndmask_b32_e32 v13, 0, v14, vcc_lo
	s_delay_alu instid0(VALU_DEP_1)
	v_add_nc_u32_e32 v8, v8, v13
	ds_store_b32 v12, v8
.LBB21_4:
	s_or_b32 exec_lo, exec_lo, s0
	v_dual_mov_b32 v8, 0 :: v_dual_mov_b32 v13, 0
	s_mov_b32 s0, exec_lo
	s_waitcnt lgkmcnt(0)
	s_barrier
	buffer_gl0_inv
	v_cmpx_lt_u32_e32 31, v0
	s_cbranch_execz .LBB21_6
; %bb.5:
	v_lshl_add_u32 v6, v6, 2, -4
	ds_load_b32 v13, v6
.LBB21_6:
	s_or_b32 exec_lo, exec_lo, s0
	v_add_nc_u32_e32 v6, -1, v4
	s_waitcnt lgkmcnt(0)
	v_add_nc_u32_e32 v3, v13, v3
	s_delay_alu instid0(VALU_DEP_2) | instskip(SKIP_3) | instid1(VALU_DEP_3)
	v_cmp_gt_i32_e32 vcc_lo, 0, v6
	v_cndmask_b32_e32 v6, v6, v4, vcc_lo
	v_cmp_eq_u32_e32 vcc_lo, 0, v4
	v_lshlrev_b32_e32 v4, 2, v12
	v_lshlrev_b32_e32 v6, 2, v6
	ds_bpermute_b32 v3, v6, v3
	ds_load_b32 v6, v8 offset:28
	s_waitcnt lgkmcnt(0)
	s_barrier
	buffer_gl0_inv
	v_cndmask_b32_e32 v3, v3, v13, vcc_lo
	v_cmp_ne_u32_e32 vcc_lo, 0, v0
	v_readfirstlane_b32 s3, v6
	s_delay_alu instid0(VALU_DEP_3) | instskip(SKIP_1) | instid1(VALU_DEP_2)
	v_cndmask_b32_e32 v0, 0, v3, vcc_lo
	v_cmp_eq_u32_e32 vcc_lo, 0, v6
	v_add_nc_u32_e32 v3, v0, v5
	s_and_b32 vcc_lo, exec_lo, vcc_lo
	s_delay_alu instid0(VALU_DEP_1) | instskip(SKIP_2) | instid1(VALU_DEP_3)
	v_add_nc_u32_e32 v5, v3, v7
	v_add_nc_u32_e32 v7, 0x400, v4
	;; [unrolled: 1-line block ×4, first 2 shown]
	ds_store_2addr_b32 v7, v0, v3 offset1:1
	ds_store_b32 v12, v2
	ds_store_2addr_b32 v4, v5, v1 offset1:1
	s_waitcnt lgkmcnt(0)
	s_barrier
	buffer_gl0_inv
	s_cbranch_vccnz .LBB21_31
; %bb.7:
	v_dual_mov_b32 v1, 0 :: v_dual_mov_b32 v18, 0x100
	v_add_co_u32 v0, vcc_lo, v10, s6
	v_add_co_ci_u32_e32 v3, vcc_lo, s7, v11, vcc_lo
	ds_load_b32 v13, v1 offset:3072
	v_add_co_u32 v14, s0, s4, v9
	v_add_co_u32 v2, vcc_lo, v0, 16
	v_add_co_ci_u32_e64 v15, null, s5, 0, s0
	v_or_b32_e32 v16, 1, v9
	v_or_b32_e32 v17, 2, v9
	;; [unrolled: 1-line block ×3, first 2 shown]
	v_add_co_ci_u32_e32 v3, vcc_lo, 0, v3, vcc_lo
	v_mov_b32_e32 v11, 0x200
	s_mov_b64 s[4:5], 0
	s_mov_b32 s6, s3
	s_branch .LBB21_9
.LBB21_8:                               ;   in Loop: Header=BB21_9 Depth=1
	s_or_b32 exec_lo, exec_lo, s0
	v_add_co_u32 v2, vcc_lo, 0x2000, v2
	v_add_co_ci_u32_e32 v3, vcc_lo, 0, v3, vcc_lo
	s_add_u32 s4, s4, 0x400
	s_addc_u32 s5, s5, 0
	s_addk_i32 s6, 0xfc00
	s_cmp_lt_u32 s4, s3
	s_cbranch_scc0 .LBB21_31
.LBB21_9:                               ; =>This Inner Loop Header: Depth=1
	v_add_co_u32 v19, s0, v12, s4
	s_delay_alu instid0(VALU_DEP_1) | instskip(SKIP_1) | instid1(VALU_DEP_2)
	v_add_co_ci_u32_e64 v0, null, 0, s5, s0
	s_waitcnt lgkmcnt(0)
	v_cmp_gt_u32_e32 vcc_lo, v13, v19
	v_cndmask_b32_e32 v4, 0x300, v18, vcc_lo
	v_cndmask_b32_e64 v0, 0x201, 0, vcc_lo
	s_delay_alu instid0(VALU_DEP_2)
	v_dual_cndmask_b32 v6, 0x400, v11 :: v_dual_lshlrev_b32 v5, 2, v4
	v_or_b32_e32 v7, 1, v4
	ds_load_b32 v5, v5 offset:1024
	s_waitcnt lgkmcnt(0)
	v_cmp_gt_u32_e32 vcc_lo, v5, v19
	v_cndmask_b32_e32 v0, v7, v0, vcc_lo
	v_cndmask_b32_e32 v4, v6, v4, vcc_lo
	s_delay_alu instid0(VALU_DEP_1) | instskip(NEXT) | instid1(VALU_DEP_1)
	v_sub_nc_u32_e32 v5, v4, v0
	v_lshrrev_b16 v6, 15, v5
	s_delay_alu instid0(VALU_DEP_1) | instskip(NEXT) | instid1(VALU_DEP_1)
	v_add_nc_u16 v5, v5, v6
	v_ashrrev_i16 v5, 1, v5
	s_delay_alu instid0(VALU_DEP_1) | instskip(NEXT) | instid1(VALU_DEP_1)
	v_bfe_i32 v5, v5, 0, 16
	v_add_nc_u32_e32 v5, v0, v5
	s_delay_alu instid0(VALU_DEP_1) | instskip(NEXT) | instid1(VALU_DEP_1)
	v_min_i32_e32 v5, 0x3ff, v5
	v_lshlrev_b32_e32 v6, 2, v5
	v_add_nc_u32_e32 v7, 1, v5
	ds_load_b32 v6, v6 offset:1024
	s_waitcnt lgkmcnt(0)
	v_cmp_gt_u32_e32 vcc_lo, v6, v19
	v_cndmask_b32_e32 v0, v7, v0, vcc_lo
	v_cndmask_b32_e32 v4, v4, v5, vcc_lo
	s_delay_alu instid0(VALU_DEP_1) | instskip(NEXT) | instid1(VALU_DEP_1)
	v_sub_nc_u32_e32 v5, v4, v0
	v_lshrrev_b16 v6, 15, v5
	s_delay_alu instid0(VALU_DEP_1) | instskip(NEXT) | instid1(VALU_DEP_1)
	v_add_nc_u16 v5, v5, v6
	v_ashrrev_i16 v5, 1, v5
	s_delay_alu instid0(VALU_DEP_1) | instskip(NEXT) | instid1(VALU_DEP_1)
	v_bfe_i32 v5, v5, 0, 16
	v_add_nc_u32_e32 v5, v0, v5
	s_delay_alu instid0(VALU_DEP_1) | instskip(NEXT) | instid1(VALU_DEP_1)
	v_min_i32_e32 v5, 0x3ff, v5
	v_add_nc_u32_e32 v7, 1, v5
	v_lshlrev_b32_e32 v6, 2, v5
	ds_load_b32 v6, v6 offset:1024
	s_waitcnt lgkmcnt(0)
	v_cmp_gt_u32_e32 vcc_lo, v6, v19
	v_cndmask_b32_e32 v0, v7, v0, vcc_lo
	v_cndmask_b32_e32 v4, v4, v5, vcc_lo
	s_delay_alu instid0(VALU_DEP_1) | instskip(NEXT) | instid1(VALU_DEP_1)
	v_sub_nc_u32_e32 v5, v4, v0
	v_lshrrev_b16 v6, 15, v5
	s_delay_alu instid0(VALU_DEP_1) | instskip(NEXT) | instid1(VALU_DEP_1)
	v_add_nc_u16 v5, v5, v6
	v_ashrrev_i16 v5, 1, v5
	s_delay_alu instid0(VALU_DEP_1) | instskip(NEXT) | instid1(VALU_DEP_1)
	v_bfe_i32 v5, v5, 0, 16
	v_add_nc_u32_e32 v5, v0, v5
	s_delay_alu instid0(VALU_DEP_1) | instskip(NEXT) | instid1(VALU_DEP_1)
	v_min_i32_e32 v5, 0x3ff, v5
	v_lshlrev_b32_e32 v6, 2, v5
	v_add_nc_u32_e32 v7, 1, v5
	ds_load_b32 v6, v6 offset:1024
	s_waitcnt lgkmcnt(0)
	v_cmp_gt_u32_e32 vcc_lo, v6, v19
	v_cndmask_b32_e32 v0, v7, v0, vcc_lo
	v_cndmask_b32_e32 v4, v4, v5, vcc_lo
	s_delay_alu instid0(VALU_DEP_1) | instskip(NEXT) | instid1(VALU_DEP_1)
	v_sub_nc_u32_e32 v5, v4, v0
	v_lshrrev_b16 v6, 15, v5
	s_delay_alu instid0(VALU_DEP_1) | instskip(NEXT) | instid1(VALU_DEP_1)
	v_add_nc_u16 v5, v5, v6
	v_ashrrev_i16 v5, 1, v5
	s_delay_alu instid0(VALU_DEP_1) | instskip(NEXT) | instid1(VALU_DEP_1)
	v_bfe_i32 v5, v5, 0, 16
	v_add_nc_u32_e32 v5, v0, v5
	s_delay_alu instid0(VALU_DEP_1) | instskip(NEXT) | instid1(VALU_DEP_1)
	v_min_i32_e32 v5, 0x3ff, v5
	v_lshlrev_b32_e32 v6, 2, v5
	v_add_nc_u32_e32 v7, 1, v5
	;; [unrolled: 18-line block ×7, first 2 shown]
	ds_load_b32 v5, v5 offset:1024
	s_waitcnt lgkmcnt(0)
	v_cmp_gt_u32_e32 vcc_lo, v5, v19
	v_cndmask_b32_e32 v22, v4, v0, vcc_lo
	v_add_nc_u32_e32 v4, 1, v19
	s_delay_alu instid0(VALU_DEP_2) | instskip(NEXT) | instid1(VALU_DEP_1)
	v_lshlrev_b32_e32 v6, 2, v22
	v_add_nc_u32_e32 v0, 0x3fc, v6
	ds_load_2addr_b32 v[7:8], v0 offset1:1
	v_add_nc_u32_e32 v0, -1, v22
	ds_load_u8 v20, v0
	s_waitcnt lgkmcnt(1)
	v_sub_nc_u32_e32 v0, 0, v7
	s_delay_alu instid0(VALU_DEP_1)
	v_add_co_u32 v0, vcc_lo, v19, v0
	v_cmp_eq_u32_e32 vcc_lo, v4, v8
	v_mov_b32_e32 v5, v1
	s_waitcnt lgkmcnt(0)
	v_mov_b32_e32 v21, v20
	v_mov_b32_e32 v4, v0
	s_and_saveexec_b32 s0, vcc_lo
	s_cbranch_execz .LBB21_11
; %bb.10:                               ;   in Loop: Header=BB21_9 Depth=1
	ds_load_b32 v5, v6 offset:1028
	ds_load_u8 v21, v22
	v_sub_nc_u32_e32 v4, 0, v8
	v_add_nc_u32_e32 v22, 1, v22
	s_delay_alu instid0(VALU_DEP_2)
	v_add_co_u32 v4, vcc_lo, v19, v4
	s_waitcnt lgkmcnt(1)
	v_mov_b32_e32 v8, v5
.LBB21_11:                              ;   in Loop: Header=BB21_9 Depth=1
	s_or_b32 exec_lo, exec_lo, s0
	v_dual_mov_b32 v6, v5 :: v_dual_add_nc_u32 v7, 2, v19
	v_mov_b32_e32 v5, v4
	s_waitcnt lgkmcnt(0)
	v_mov_b32_e32 v23, v21
	s_mov_b32 s0, exec_lo
	v_cmpx_eq_u32_e64 v7, v8
	s_cbranch_execz .LBB21_13
; %bb.12:                               ;   in Loop: Header=BB21_9 Depth=1
	v_add_nc_u32_e32 v6, 1, v22
	s_delay_alu instid0(VALU_DEP_1) | instskip(SKIP_4) | instid1(VALU_DEP_1)
	v_lshlrev_b32_e32 v5, 2, v6
	ds_load_b32 v7, v5 offset:1024
	ds_load_u8 v23, v22
	v_mov_b32_e32 v22, v6
	v_sub_nc_u32_e32 v5, 0, v8
	v_add_co_u32 v5, vcc_lo, v19, v5
	s_waitcnt lgkmcnt(1)
	v_mov_b32_e32 v8, v7
.LBB21_13:                              ;   in Loop: Header=BB21_9 Depth=1
	s_or_b32 exec_lo, exec_lo, s0
	v_dual_mov_b32 v7, v6 :: v_dual_add_nc_u32 v24, 3, v19
	v_mov_b32_e32 v6, v5
	s_delay_alu instid0(VALU_DEP_2)
	v_cmp_eq_u32_e32 vcc_lo, v24, v8
	s_waitcnt lgkmcnt(0)
	v_mov_b32_e32 v24, v23
	s_and_saveexec_b32 s0, vcc_lo
	s_cbranch_execz .LBB21_15
; %bb.14:                               ;   in Loop: Header=BB21_9 Depth=1
	v_lshlrev_b32_e32 v6, 2, v22
	ds_load_b32 v6, v6 offset:1024
	ds_load_u8 v24, v22
	s_waitcnt lgkmcnt(1)
	v_sub_nc_u32_e32 v6, 0, v6
	s_delay_alu instid0(VALU_DEP_1)
	v_add_co_u32 v6, vcc_lo, v19, v6
.LBB21_15:                              ;   in Loop: Header=BB21_9 Depth=1
	s_or_b32 exec_lo, exec_lo, s0
	s_min_u32 s7, s6, 0x400
	v_add_co_u32 v7, vcc_lo, v14, s4
	v_add_co_ci_u32_e32 v8, vcc_lo, s5, v15, vcc_lo
	v_cmp_gt_u32_e64 s2, s7, v9
	s_delay_alu instid0(VALU_DEP_1)
	s_and_saveexec_b32 s0, s2
	s_cbranch_execnz .LBB21_23
; %bb.16:                               ;   in Loop: Header=BB21_9 Depth=1
	s_or_b32 exec_lo, exec_lo, s0
	v_cmp_gt_u32_e64 s1, s7, v16
	s_delay_alu instid0(VALU_DEP_1)
	s_and_saveexec_b32 s0, s1
	s_cbranch_execnz .LBB21_24
.LBB21_17:                              ;   in Loop: Header=BB21_9 Depth=1
	s_or_b32 exec_lo, exec_lo, s0
	v_cmp_gt_u32_e64 s0, s7, v17
	s_delay_alu instid0(VALU_DEP_1)
	s_and_saveexec_b32 s8, s0
	s_cbranch_execnz .LBB21_25
.LBB21_18:                              ;   in Loop: Header=BB21_9 Depth=1
	s_or_b32 exec_lo, exec_lo, s8
	v_cmp_gt_u32_e32 vcc_lo, s7, v10
	s_and_saveexec_b32 s7, vcc_lo
	s_cbranch_execnz .LBB21_26
.LBB21_19:                              ;   in Loop: Header=BB21_9 Depth=1
	s_or_b32 exec_lo, exec_lo, s7
	s_and_saveexec_b32 s7, s2
	s_cbranch_execnz .LBB21_27
.LBB21_20:                              ;   in Loop: Header=BB21_9 Depth=1
	s_or_b32 exec_lo, exec_lo, s7
	s_and_saveexec_b32 s2, s1
	s_cbranch_execnz .LBB21_28
.LBB21_21:                              ;   in Loop: Header=BB21_9 Depth=1
	s_or_b32 exec_lo, exec_lo, s2
	s_and_saveexec_b32 s1, s0
	s_cbranch_execnz .LBB21_29
.LBB21_22:                              ;   in Loop: Header=BB21_9 Depth=1
	s_or_b32 exec_lo, exec_lo, s1
	s_and_saveexec_b32 s0, vcc_lo
	s_cbranch_execz .LBB21_8
	s_branch .LBB21_30
.LBB21_23:                              ;   in Loop: Header=BB21_9 Depth=1
	global_store_b8 v[7:8], v20, off
	s_or_b32 exec_lo, exec_lo, s0
	v_cmp_gt_u32_e64 s1, s7, v16
	s_delay_alu instid0(VALU_DEP_1)
	s_and_saveexec_b32 s0, s1
	s_cbranch_execz .LBB21_17
.LBB21_24:                              ;   in Loop: Header=BB21_9 Depth=1
	global_store_b8 v[7:8], v21, off offset:1
	s_or_b32 exec_lo, exec_lo, s0
	v_cmp_gt_u32_e64 s0, s7, v17
	s_delay_alu instid0(VALU_DEP_1)
	s_and_saveexec_b32 s8, s0
	s_cbranch_execz .LBB21_18
.LBB21_25:                              ;   in Loop: Header=BB21_9 Depth=1
	global_store_b8 v[7:8], v23, off offset:2
	s_or_b32 exec_lo, exec_lo, s8
	v_cmp_gt_u32_e32 vcc_lo, s7, v10
	s_and_saveexec_b32 s7, vcc_lo
	s_cbranch_execz .LBB21_19
.LBB21_26:                              ;   in Loop: Header=BB21_9 Depth=1
	s_waitcnt lgkmcnt(0)
	global_store_b8 v[7:8], v24, off offset:3
	s_or_b32 exec_lo, exec_lo, s7
	s_and_saveexec_b32 s7, s2
	s_cbranch_execz .LBB21_20
.LBB21_27:                              ;   in Loop: Header=BB21_9 Depth=1
	global_store_b64 v[2:3], v[0:1], off offset:-16
	s_or_b32 exec_lo, exec_lo, s7
	s_and_saveexec_b32 s2, s1
	s_cbranch_execz .LBB21_21
.LBB21_28:                              ;   in Loop: Header=BB21_9 Depth=1
	v_add_nc_u32_e32 v0, 1, v4
	global_store_b64 v[2:3], v[0:1], off offset:-8
	s_or_b32 exec_lo, exec_lo, s2
	s_and_saveexec_b32 s1, s0
	s_cbranch_execz .LBB21_22
.LBB21_29:                              ;   in Loop: Header=BB21_9 Depth=1
	v_add_nc_u32_e32 v0, 2, v5
	global_store_b64 v[2:3], v[0:1], off
	s_or_b32 exec_lo, exec_lo, s1
	s_and_saveexec_b32 s0, vcc_lo
	s_cbranch_execz .LBB21_8
.LBB21_30:                              ;   in Loop: Header=BB21_9 Depth=1
	v_add_nc_u32_e32 v0, 3, v6
	global_store_b64 v[2:3], v[0:1], off offset:8
	s_branch .LBB21_8
.LBB21_31:
	s_nop 0
	s_sendmsg sendmsg(MSG_DEALLOC_VGPRS)
	s_endpgm
	.section	.rodata,"a",@progbits
	.p2align	6, 0x0
	.amdhsa_kernel _Z30block_run_length_decode_kernelIcxLj256ELj4ELj4EEvPKT_PKT0_PS0_PS3_
		.amdhsa_group_segment_fixed_size 5120
		.amdhsa_private_segment_fixed_size 0
		.amdhsa_kernarg_size 32
		.amdhsa_user_sgpr_count 15
		.amdhsa_user_sgpr_dispatch_ptr 0
		.amdhsa_user_sgpr_queue_ptr 0
		.amdhsa_user_sgpr_kernarg_segment_ptr 1
		.amdhsa_user_sgpr_dispatch_id 0
		.amdhsa_user_sgpr_private_segment_size 0
		.amdhsa_wavefront_size32 1
		.amdhsa_uses_dynamic_stack 0
		.amdhsa_enable_private_segment 0
		.amdhsa_system_sgpr_workgroup_id_x 1
		.amdhsa_system_sgpr_workgroup_id_y 0
		.amdhsa_system_sgpr_workgroup_id_z 0
		.amdhsa_system_sgpr_workgroup_info 0
		.amdhsa_system_vgpr_workitem_id 0
		.amdhsa_next_free_vgpr 25
		.amdhsa_next_free_sgpr 16
		.amdhsa_reserve_vcc 1
		.amdhsa_float_round_mode_32 0
		.amdhsa_float_round_mode_16_64 0
		.amdhsa_float_denorm_mode_32 3
		.amdhsa_float_denorm_mode_16_64 3
		.amdhsa_dx10_clamp 1
		.amdhsa_ieee_mode 1
		.amdhsa_fp16_overflow 0
		.amdhsa_workgroup_processor_mode 1
		.amdhsa_memory_ordered 1
		.amdhsa_forward_progress 0
		.amdhsa_shared_vgpr_count 0
		.amdhsa_exception_fp_ieee_invalid_op 0
		.amdhsa_exception_fp_denorm_src 0
		.amdhsa_exception_fp_ieee_div_zero 0
		.amdhsa_exception_fp_ieee_overflow 0
		.amdhsa_exception_fp_ieee_underflow 0
		.amdhsa_exception_fp_ieee_inexact 0
		.amdhsa_exception_int_div_zero 0
	.end_amdhsa_kernel
	.section	.text._Z30block_run_length_decode_kernelIcxLj256ELj4ELj4EEvPKT_PKT0_PS0_PS3_,"axG",@progbits,_Z30block_run_length_decode_kernelIcxLj256ELj4ELj4EEvPKT_PKT0_PS0_PS3_,comdat
.Lfunc_end21:
	.size	_Z30block_run_length_decode_kernelIcxLj256ELj4ELj4EEvPKT_PKT0_PS0_PS3_, .Lfunc_end21-_Z30block_run_length_decode_kernelIcxLj256ELj4ELj4EEvPKT_PKT0_PS0_PS3_
                                        ; -- End function
	.section	.AMDGPU.csdata,"",@progbits
; Kernel info:
; codeLenInByte = 2424
; NumSgprs: 18
; NumVgprs: 25
; ScratchSize: 0
; MemoryBound: 0
; FloatMode: 240
; IeeeMode: 1
; LDSByteSize: 5120 bytes/workgroup (compile time only)
; SGPRBlocks: 2
; VGPRBlocks: 3
; NumSGPRsForWavesPerEU: 18
; NumVGPRsForWavesPerEU: 25
; Occupancy: 16
; WaveLimiterHint : 0
; COMPUTE_PGM_RSRC2:SCRATCH_EN: 0
; COMPUTE_PGM_RSRC2:USER_SGPR: 15
; COMPUTE_PGM_RSRC2:TRAP_HANDLER: 0
; COMPUTE_PGM_RSRC2:TGID_X_EN: 1
; COMPUTE_PGM_RSRC2:TGID_Y_EN: 0
; COMPUTE_PGM_RSRC2:TGID_Z_EN: 0
; COMPUTE_PGM_RSRC2:TIDIG_COMP_CNT: 0
	.section	.text._Z30block_run_length_decode_kernelIdcLj256ELj4ELj4EEvPKT_PKT0_PS0_PS3_,"axG",@progbits,_Z30block_run_length_decode_kernelIdcLj256ELj4ELj4EEvPKT_PKT0_PS0_PS3_,comdat
	.protected	_Z30block_run_length_decode_kernelIdcLj256ELj4ELj4EEvPKT_PKT0_PS0_PS3_ ; -- Begin function _Z30block_run_length_decode_kernelIdcLj256ELj4ELj4EEvPKT_PKT0_PS0_PS3_
	.globl	_Z30block_run_length_decode_kernelIdcLj256ELj4ELj4EEvPKT_PKT0_PS0_PS3_
	.p2align	8
	.type	_Z30block_run_length_decode_kernelIdcLj256ELj4ELj4EEvPKT_PKT0_PS0_PS3_,@function
_Z30block_run_length_decode_kernelIdcLj256ELj4ELj4EEvPKT_PKT0_PS0_PS3_: ; @_Z30block_run_length_decode_kernelIdcLj256ELj4ELj4EEvPKT_PKT0_PS0_PS3_
; %bb.0:
	s_load_b256 s[0:7], s[0:1], 0x0
	v_lshlrev_b32_e32 v18, 2, v0
	v_or_b32_e32 v20, 31, v0
	s_delay_alu instid0(VALU_DEP_2)
	v_lshl_or_b32 v9, s15, 10, v18
	s_waitcnt lgkmcnt(0)
	global_load_b32 v15, v9, s[2:3]
	s_waitcnt vmcnt(0)
	v_bfe_i32 v14, v15, 0, 8
	v_bfe_i32 v13, v15, 8, 8
	v_mov_b32_e32 v10, 0
	v_bfe_i32 v12, v15, 16, 8
	v_ashrrev_i32_e32 v16, 24, v15
	v_mbcnt_lo_u32_b32 v15, -1, 0
	v_add_nc_u32_e32 v17, v13, v14
	v_lshlrev_b64 v[10:11], 3, v[9:10]
	s_delay_alu instid0(VALU_DEP_2) | instskip(NEXT) | instid1(VALU_DEP_4)
	v_add3_u32 v16, v17, v12, v16
	v_and_b32_e32 v17, 15, v15
	s_delay_alu instid0(VALU_DEP_3) | instskip(NEXT) | instid1(VALU_DEP_4)
	v_add_co_u32 v5, vcc_lo, s0, v10
	v_add_co_ci_u32_e32 v6, vcc_lo, s1, v11, vcc_lo
	s_delay_alu instid0(VALU_DEP_4)
	v_mov_b32_dpp v19, v16 row_shr:1 row_mask:0xf bank_mask:0xf
	s_clause 0x1
	global_load_b128 v[1:4], v[5:6], off offset:16
	global_load_b128 v[5:8], v[5:6], off
	v_cmp_ne_u32_e32 vcc_lo, 0, v17
	s_mov_b32 s0, exec_lo
	v_cndmask_b32_e32 v19, 0, v19, vcc_lo
	v_cmp_lt_u32_e32 vcc_lo, 1, v17
	s_delay_alu instid0(VALU_DEP_2) | instskip(NEXT) | instid1(VALU_DEP_1)
	v_add_nc_u32_e32 v16, v19, v16
	v_mov_b32_dpp v19, v16 row_shr:2 row_mask:0xf bank_mask:0xf
	s_delay_alu instid0(VALU_DEP_1) | instskip(SKIP_1) | instid1(VALU_DEP_2)
	v_cndmask_b32_e32 v19, 0, v19, vcc_lo
	v_cmp_lt_u32_e32 vcc_lo, 3, v17
	v_add_nc_u32_e32 v16, v16, v19
	s_delay_alu instid0(VALU_DEP_1) | instskip(NEXT) | instid1(VALU_DEP_1)
	v_mov_b32_dpp v19, v16 row_shr:4 row_mask:0xf bank_mask:0xf
	v_cndmask_b32_e32 v19, 0, v19, vcc_lo
	v_cmp_lt_u32_e32 vcc_lo, 7, v17
	s_delay_alu instid0(VALU_DEP_2) | instskip(NEXT) | instid1(VALU_DEP_1)
	v_add_nc_u32_e32 v16, v16, v19
	v_mov_b32_dpp v19, v16 row_shr:8 row_mask:0xf bank_mask:0xf
	s_delay_alu instid0(VALU_DEP_1) | instskip(SKIP_1) | instid1(VALU_DEP_2)
	v_cndmask_b32_e32 v17, 0, v19, vcc_lo
	v_bfe_i32 v19, v15, 4, 1
	v_add_nc_u32_e32 v16, v16, v17
	ds_swizzle_b32 v17, v16 offset:swizzle(BROADCAST,32,15)
	s_waitcnt lgkmcnt(0)
	v_and_b32_e32 v19, v19, v17
	v_lshrrev_b32_e32 v17, 5, v0
	s_delay_alu instid0(VALU_DEP_2)
	v_add_nc_u32_e32 v16, v16, v19
	v_cmpx_eq_u32_e64 v20, v0
	s_cbranch_execz .LBB22_2
; %bb.1:
	s_delay_alu instid0(VALU_DEP_3)
	v_lshlrev_b32_e32 v19, 2, v17
	ds_store_b32 v19, v16
.LBB22_2:
	s_or_b32 exec_lo, exec_lo, s0
	s_delay_alu instid0(SALU_CYCLE_1)
	s_mov_b32 s0, exec_lo
	s_waitcnt vmcnt(0) lgkmcnt(0)
	s_barrier
	buffer_gl0_inv
	v_cmpx_gt_u32_e32 8, v0
	s_cbranch_execz .LBB22_4
; %bb.3:
	ds_load_b32 v19, v18
	s_waitcnt lgkmcnt(0)
	v_mov_b32_dpp v21, v19 row_shr:1 row_mask:0xf bank_mask:0xf
	v_and_b32_e32 v20, 7, v15
	s_delay_alu instid0(VALU_DEP_1) | instskip(NEXT) | instid1(VALU_DEP_3)
	v_cmp_ne_u32_e32 vcc_lo, 0, v20
	v_cndmask_b32_e32 v21, 0, v21, vcc_lo
	v_cmp_lt_u32_e32 vcc_lo, 1, v20
	s_delay_alu instid0(VALU_DEP_2) | instskip(NEXT) | instid1(VALU_DEP_1)
	v_add_nc_u32_e32 v19, v21, v19
	v_mov_b32_dpp v21, v19 row_shr:2 row_mask:0xf bank_mask:0xf
	s_delay_alu instid0(VALU_DEP_1) | instskip(SKIP_1) | instid1(VALU_DEP_2)
	v_cndmask_b32_e32 v21, 0, v21, vcc_lo
	v_cmp_lt_u32_e32 vcc_lo, 3, v20
	v_add_nc_u32_e32 v19, v19, v21
	s_delay_alu instid0(VALU_DEP_1) | instskip(NEXT) | instid1(VALU_DEP_1)
	v_mov_b32_dpp v21, v19 row_shr:4 row_mask:0xf bank_mask:0xf
	v_cndmask_b32_e32 v20, 0, v21, vcc_lo
	s_delay_alu instid0(VALU_DEP_1)
	v_add_nc_u32_e32 v19, v19, v20
	ds_store_b32 v18, v19
.LBB22_4:
	s_or_b32 exec_lo, exec_lo, s0
	v_dual_mov_b32 v19, 0 :: v_dual_mov_b32 v20, 0
	s_mov_b32 s0, exec_lo
	s_waitcnt lgkmcnt(0)
	s_barrier
	buffer_gl0_inv
	v_cmpx_lt_u32_e32 31, v0
	s_cbranch_execz .LBB22_6
; %bb.5:
	v_lshl_add_u32 v17, v17, 2, -4
	ds_load_b32 v20, v17
.LBB22_6:
	s_or_b32 exec_lo, exec_lo, s0
	v_add_nc_u32_e32 v17, -1, v15
	s_waitcnt lgkmcnt(0)
	v_add_nc_u32_e32 v16, v20, v16
	s_delay_alu instid0(VALU_DEP_2) | instskip(SKIP_2) | instid1(VALU_DEP_2)
	v_cmp_gt_i32_e32 vcc_lo, 0, v17
	v_cndmask_b32_e32 v17, v17, v15, vcc_lo
	v_cmp_eq_u32_e32 vcc_lo, 0, v15
	v_lshlrev_b32_e32 v17, 2, v17
	ds_bpermute_b32 v16, v17, v16
	ds_load_b32 v17, v19 offset:28
	s_waitcnt lgkmcnt(0)
	s_barrier
	buffer_gl0_inv
	v_dual_cndmask_b32 v15, v16, v20 :: v_dual_lshlrev_b32 v16, 3, v18
	v_cmp_ne_u32_e32 vcc_lo, 0, v0
	v_readfirstlane_b32 s8, v17
	ds_store_2addr_b64 v16, v[5:6], v[7:8] offset1:1
	v_dual_cndmask_b32 v0, 0, v15 :: v_dual_lshlrev_b32 v15, 2, v18
	v_cmp_eq_u32_e32 vcc_lo, 0, v17
	s_delay_alu instid0(VALU_DEP_2) | instskip(NEXT) | instid1(VALU_DEP_3)
	v_add_nc_u32_e32 v14, v0, v14
	v_or_b32_e32 v19, 0x2000, v15
	s_and_b32 vcc_lo, exec_lo, vcc_lo
	s_delay_alu instid0(VALU_DEP_2) | instskip(NEXT) | instid1(VALU_DEP_1)
	v_add_nc_u32_e32 v13, v14, v13
	v_add_nc_u32_e32 v5, v13, v12
	ds_store_2addr_b32 v19, v0, v14 offset1:1
	ds_store_b32 v15, v13 offset:8200
	ds_store_2addr_b64 v16, v[1:2], v[3:4] offset0:2 offset1:3
	ds_store_b32 v15, v5 offset:8204
	s_waitcnt lgkmcnt(0)
	s_barrier
	buffer_gl0_inv
	s_cbranch_vccnz .LBB22_31
; %bb.7:
	v_dual_mov_b32 v0, 0 :: v_dual_mov_b32 v25, 0x200
	v_add_co_u32 v20, s0, s6, v9
	s_delay_alu instid0(VALU_DEP_1) | instskip(SKIP_4) | instid1(VALU_DEP_3)
	v_add_co_ci_u32_e64 v21, null, s7, 0, s0
	ds_load_b32 v19, v0 offset:10240
	v_add_co_u32 v0, vcc_lo, v10, s4
	v_add_co_ci_u32_e32 v1, vcc_lo, s5, v11, vcc_lo
	v_or_b32_e32 v22, 1, v9
	v_add_co_u32 v0, vcc_lo, v0, 16
	v_or_b32_e32 v23, 2, v9
	v_or_b32_e32 v24, 3, v9
	v_add_co_ci_u32_e32 v1, vcc_lo, 0, v1, vcc_lo
	v_mov_b32_e32 v26, 0x100
	s_mov_b64 s[4:5], 0
	s_mov_b32 s6, s8
	s_branch .LBB22_9
.LBB22_8:                               ;   in Loop: Header=BB22_9 Depth=1
	s_or_b32 exec_lo, exec_lo, s0
	v_add_co_u32 v0, vcc_lo, 0x2000, v0
	v_add_co_ci_u32_e32 v1, vcc_lo, 0, v1, vcc_lo
	s_add_u32 s4, s4, 0x400
	s_addc_u32 s5, s5, 0
	s_addk_i32 s6, 0xfc00
	s_cmp_lt_u32 s4, s8
	s_cbranch_scc0 .LBB22_31
.LBB22_9:                               ; =>This Inner Loop Header: Depth=1
	v_add_co_u32 v27, s0, v18, s4
	s_delay_alu instid0(VALU_DEP_1) | instskip(SKIP_1) | instid1(VALU_DEP_2)
	v_add_co_ci_u32_e64 v2, null, 0, s5, s0
	s_waitcnt lgkmcnt(0)
	v_cmp_gt_u32_e32 vcc_lo, v19, v27
	v_cndmask_b32_e32 v3, 0x300, v26, vcc_lo
	v_cndmask_b32_e64 v2, 0x201, 0, vcc_lo
	s_delay_alu instid0(VALU_DEP_2)
	v_dual_cndmask_b32 v5, 0x400, v25 :: v_dual_lshlrev_b32 v4, 2, v3
	v_or_b32_e32 v6, 1, v3
	ds_load_b32 v4, v4 offset:8192
	s_waitcnt lgkmcnt(0)
	v_cmp_gt_u32_e32 vcc_lo, v4, v27
	v_dual_cndmask_b32 v2, v6, v2 :: v_dual_cndmask_b32 v3, v5, v3
	s_delay_alu instid0(VALU_DEP_1) | instskip(NEXT) | instid1(VALU_DEP_1)
	v_sub_nc_u32_e32 v4, v3, v2
	v_lshrrev_b16 v5, 15, v4
	s_delay_alu instid0(VALU_DEP_1) | instskip(NEXT) | instid1(VALU_DEP_1)
	v_add_nc_u16 v4, v4, v5
	v_ashrrev_i16 v4, 1, v4
	s_delay_alu instid0(VALU_DEP_1) | instskip(NEXT) | instid1(VALU_DEP_1)
	v_bfe_i32 v4, v4, 0, 16
	v_add_nc_u32_e32 v4, v2, v4
	s_delay_alu instid0(VALU_DEP_1) | instskip(NEXT) | instid1(VALU_DEP_1)
	v_min_i32_e32 v4, 0x3ff, v4
	v_add_nc_u32_e32 v6, 1, v4
	v_lshlrev_b32_e32 v5, 2, v4
	ds_load_b32 v5, v5 offset:8192
	s_waitcnt lgkmcnt(0)
	v_cmp_gt_u32_e32 vcc_lo, v5, v27
	v_dual_cndmask_b32 v2, v6, v2 :: v_dual_cndmask_b32 v3, v3, v4
	s_delay_alu instid0(VALU_DEP_1) | instskip(NEXT) | instid1(VALU_DEP_1)
	v_sub_nc_u32_e32 v4, v3, v2
	v_lshrrev_b16 v5, 15, v4
	s_delay_alu instid0(VALU_DEP_1) | instskip(NEXT) | instid1(VALU_DEP_1)
	v_add_nc_u16 v4, v4, v5
	v_ashrrev_i16 v4, 1, v4
	s_delay_alu instid0(VALU_DEP_1) | instskip(NEXT) | instid1(VALU_DEP_1)
	v_bfe_i32 v4, v4, 0, 16
	v_add_nc_u32_e32 v4, v2, v4
	s_delay_alu instid0(VALU_DEP_1) | instskip(NEXT) | instid1(VALU_DEP_1)
	v_min_i32_e32 v4, 0x3ff, v4
	v_lshlrev_b32_e32 v5, 2, v4
	v_add_nc_u32_e32 v6, 1, v4
	ds_load_b32 v5, v5 offset:8192
	s_waitcnt lgkmcnt(0)
	v_cmp_gt_u32_e32 vcc_lo, v5, v27
	v_dual_cndmask_b32 v2, v6, v2 :: v_dual_cndmask_b32 v3, v3, v4
	s_delay_alu instid0(VALU_DEP_1) | instskip(NEXT) | instid1(VALU_DEP_1)
	v_sub_nc_u32_e32 v4, v3, v2
	v_lshrrev_b16 v5, 15, v4
	s_delay_alu instid0(VALU_DEP_1) | instskip(NEXT) | instid1(VALU_DEP_1)
	v_add_nc_u16 v4, v4, v5
	v_ashrrev_i16 v4, 1, v4
	s_delay_alu instid0(VALU_DEP_1) | instskip(NEXT) | instid1(VALU_DEP_1)
	v_bfe_i32 v4, v4, 0, 16
	v_add_nc_u32_e32 v4, v2, v4
	s_delay_alu instid0(VALU_DEP_1) | instskip(NEXT) | instid1(VALU_DEP_1)
	v_min_i32_e32 v4, 0x3ff, v4
	v_lshlrev_b32_e32 v5, 2, v4
	v_add_nc_u32_e32 v6, 1, v4
	;; [unrolled: 17-line block ×8, first 2 shown]
	ds_load_b32 v4, v4 offset:8192
	s_waitcnt lgkmcnt(0)
	v_cmp_gt_u32_e32 vcc_lo, v4, v27
	v_cndmask_b32_e32 v28, v3, v2, vcc_lo
	s_delay_alu instid0(VALU_DEP_1) | instskip(SKIP_1) | instid1(VALU_DEP_2)
	v_lshlrev_b32_e32 v4, 2, v28
	v_lshl_add_u32 v5, v28, 3, -8
	v_add_nc_u32_e32 v2, 0x1ffc, v4
	ds_load_2addr_b32 v[2:3], v2 offset1:1
	ds_load_b64 v[7:8], v5
	v_add_nc_u32_e32 v5, 1, v27
	s_waitcnt lgkmcnt(1)
	s_delay_alu instid0(VALU_DEP_1)
	v_cmp_eq_u32_e32 vcc_lo, v5, v3
	s_waitcnt lgkmcnt(0)
	v_dual_mov_b32 v11, v8 :: v_dual_mov_b32 v10, v7
	v_mov_b32_e32 v5, v2
	s_and_saveexec_b32 s0, vcc_lo
	s_cbranch_execz .LBB22_11
; %bb.10:                               ;   in Loop: Header=BB22_9 Depth=1
	v_lshlrev_b32_e32 v5, 3, v28
	v_add_nc_u32_e32 v28, 1, v28
	ds_load_b32 v4, v4 offset:8196
	ds_load_b64 v[10:11], v5
	v_mov_b32_e32 v5, v3
	s_waitcnt lgkmcnt(1)
	v_mov_b32_e32 v3, v4
.LBB22_11:                              ;   in Loop: Header=BB22_9 Depth=1
	s_or_b32 exec_lo, exec_lo, s0
	s_delay_alu instid0(VALU_DEP_1) | instskip(SKIP_3) | instid1(VALU_DEP_3)
	v_sub_nc_u32_e32 v4, 0, v5
	v_add_nc_u32_e32 v5, 2, v27
	s_waitcnt lgkmcnt(0)
	v_dual_mov_b32 v15, v11 :: v_dual_mov_b32 v14, v10
	v_add_co_u32 v4, vcc_lo, v27, v4
	s_delay_alu instid0(VALU_DEP_3) | instskip(SKIP_1) | instid1(VALU_DEP_3)
	v_cmp_eq_u32_e32 vcc_lo, v5, v3
	v_mov_b32_e32 v6, v5
	v_mov_b32_e32 v5, v4
	s_and_saveexec_b32 s0, vcc_lo
	s_cbranch_execz .LBB22_13
; %bb.12:                               ;   in Loop: Header=BB22_9 Depth=1
	v_add_nc_u32_e32 v6, 1, v28
	v_lshlrev_b32_e32 v12, 3, v28
	v_sub_nc_u32_e32 v3, 0, v3
	s_delay_alu instid0(VALU_DEP_3)
	v_lshlrev_b32_e32 v5, 2, v6
	ds_load_b32 v13, v5 offset:8192
	ds_load_b64 v[14:15], v12
	v_add_co_u32 v5, vcc_lo, v27, v3
	s_waitcnt lgkmcnt(1)
	v_dual_mov_b32 v3, v13 :: v_dual_mov_b32 v28, v6
.LBB22_13:                              ;   in Loop: Header=BB22_9 Depth=1
	s_or_b32 exec_lo, exec_lo, s0
	v_dual_mov_b32 v13, v6 :: v_dual_add_nc_u32 v16, 3, v27
	v_mov_b32_e32 v12, v5
	s_delay_alu instid0(VALU_DEP_2)
	v_cmp_eq_u32_e32 vcc_lo, v16, v3
	s_waitcnt lgkmcnt(0)
	v_dual_mov_b32 v17, v15 :: v_dual_mov_b32 v16, v14
	s_and_saveexec_b32 s0, vcc_lo
	s_cbranch_execz .LBB22_15
; %bb.14:                               ;   in Loop: Header=BB22_9 Depth=1
	v_lshlrev_b32_e32 v3, 2, v28
	v_lshlrev_b32_e32 v6, 3, v28
	ds_load_b32 v3, v3 offset:8192
	ds_load_b64 v[16:17], v6
	s_waitcnt lgkmcnt(1)
	v_sub_nc_u32_e32 v3, 0, v3
	s_delay_alu instid0(VALU_DEP_1)
	v_add_co_u32 v12, vcc_lo, v27, v3
.LBB22_15:                              ;   in Loop: Header=BB22_9 Depth=1
	s_or_b32 exec_lo, exec_lo, s0
	s_min_u32 s2, s6, 0x400
	s_delay_alu instid0(SALU_CYCLE_1)
	v_cmp_gt_u32_e32 vcc_lo, s2, v9
	s_and_saveexec_b32 s0, vcc_lo
	s_cbranch_execnz .LBB22_24
; %bb.16:                               ;   in Loop: Header=BB22_9 Depth=1
	s_or_b32 exec_lo, exec_lo, s0
	v_cmp_gt_u32_e64 s0, s2, v22
	s_delay_alu instid0(VALU_DEP_1)
	s_and_saveexec_b32 s1, s0
	s_cbranch_execnz .LBB22_25
.LBB22_17:                              ;   in Loop: Header=BB22_9 Depth=1
	s_or_b32 exec_lo, exec_lo, s1
	v_cmp_gt_u32_e64 s1, s2, v23
	s_delay_alu instid0(VALU_DEP_1)
	s_and_saveexec_b32 s3, s1
	s_cbranch_execnz .LBB22_26
.LBB22_18:                              ;   in Loop: Header=BB22_9 Depth=1
	s_or_b32 exec_lo, exec_lo, s3
	v_cmp_gt_u32_e64 s2, s2, v24
	s_delay_alu instid0(VALU_DEP_1)
	s_and_saveexec_b32 s3, s2
	s_cbranch_execz .LBB22_20
.LBB22_19:                              ;   in Loop: Header=BB22_9 Depth=1
	s_waitcnt lgkmcnt(0)
	global_store_b64 v[0:1], v[16:17], off offset:8
.LBB22_20:                              ;   in Loop: Header=BB22_9 Depth=1
	s_or_b32 exec_lo, exec_lo, s3
	v_add_co_u32 v6, s3, v20, s4
	s_delay_alu instid0(VALU_DEP_1)
	v_add_co_ci_u32_e64 v7, s3, s5, v21, s3
	s_and_saveexec_b32 s3, vcc_lo
	s_cbranch_execnz .LBB22_27
; %bb.21:                               ;   in Loop: Header=BB22_9 Depth=1
	s_or_b32 exec_lo, exec_lo, s3
	s_and_saveexec_b32 s3, s0
	s_cbranch_execnz .LBB22_28
.LBB22_22:                              ;   in Loop: Header=BB22_9 Depth=1
	s_or_b32 exec_lo, exec_lo, s3
	s_and_saveexec_b32 s0, s1
	s_cbranch_execnz .LBB22_29
.LBB22_23:                              ;   in Loop: Header=BB22_9 Depth=1
	s_or_b32 exec_lo, exec_lo, s0
	s_and_saveexec_b32 s0, s2
	s_cbranch_execz .LBB22_8
	s_branch .LBB22_30
.LBB22_24:                              ;   in Loop: Header=BB22_9 Depth=1
	global_store_b64 v[0:1], v[7:8], off offset:-16
	s_or_b32 exec_lo, exec_lo, s0
	v_cmp_gt_u32_e64 s0, s2, v22
	s_delay_alu instid0(VALU_DEP_1)
	s_and_saveexec_b32 s1, s0
	s_cbranch_execz .LBB22_17
.LBB22_25:                              ;   in Loop: Header=BB22_9 Depth=1
	global_store_b64 v[0:1], v[10:11], off offset:-8
	s_or_b32 exec_lo, exec_lo, s1
	v_cmp_gt_u32_e64 s1, s2, v23
	s_delay_alu instid0(VALU_DEP_1)
	s_and_saveexec_b32 s3, s1
	s_cbranch_execz .LBB22_18
.LBB22_26:                              ;   in Loop: Header=BB22_9 Depth=1
	global_store_b64 v[0:1], v[14:15], off
	s_or_b32 exec_lo, exec_lo, s3
	v_cmp_gt_u32_e64 s2, s2, v24
	s_delay_alu instid0(VALU_DEP_1)
	s_and_saveexec_b32 s3, s2
	s_cbranch_execnz .LBB22_19
	s_branch .LBB22_20
.LBB22_27:                              ;   in Loop: Header=BB22_9 Depth=1
	v_sub_nc_u32_e32 v2, v18, v2
	global_store_b8 v[6:7], v2, off
	s_or_b32 exec_lo, exec_lo, s3
	s_and_saveexec_b32 s3, s0
	s_cbranch_execz .LBB22_22
.LBB22_28:                              ;   in Loop: Header=BB22_9 Depth=1
	v_add_nc_u16 v2, v4, 1
	global_store_b8 v[6:7], v2, off offset:1
	s_or_b32 exec_lo, exec_lo, s3
	s_and_saveexec_b32 s0, s1
	s_cbranch_execz .LBB22_23
.LBB22_29:                              ;   in Loop: Header=BB22_9 Depth=1
	v_add_nc_u16 v2, v5, 2
	global_store_b8 v[6:7], v2, off offset:2
	s_or_b32 exec_lo, exec_lo, s0
	s_and_saveexec_b32 s0, s2
	s_cbranch_execz .LBB22_8
.LBB22_30:                              ;   in Loop: Header=BB22_9 Depth=1
	v_add_nc_u16 v2, v12, 3
	global_store_b8 v[6:7], v2, off offset:3
	s_branch .LBB22_8
.LBB22_31:
	s_nop 0
	s_sendmsg sendmsg(MSG_DEALLOC_VGPRS)
	s_endpgm
	.section	.rodata,"a",@progbits
	.p2align	6, 0x0
	.amdhsa_kernel _Z30block_run_length_decode_kernelIdcLj256ELj4ELj4EEvPKT_PKT0_PS0_PS3_
		.amdhsa_group_segment_fixed_size 12288
		.amdhsa_private_segment_fixed_size 0
		.amdhsa_kernarg_size 32
		.amdhsa_user_sgpr_count 15
		.amdhsa_user_sgpr_dispatch_ptr 0
		.amdhsa_user_sgpr_queue_ptr 0
		.amdhsa_user_sgpr_kernarg_segment_ptr 1
		.amdhsa_user_sgpr_dispatch_id 0
		.amdhsa_user_sgpr_private_segment_size 0
		.amdhsa_wavefront_size32 1
		.amdhsa_uses_dynamic_stack 0
		.amdhsa_enable_private_segment 0
		.amdhsa_system_sgpr_workgroup_id_x 1
		.amdhsa_system_sgpr_workgroup_id_y 0
		.amdhsa_system_sgpr_workgroup_id_z 0
		.amdhsa_system_sgpr_workgroup_info 0
		.amdhsa_system_vgpr_workitem_id 0
		.amdhsa_next_free_vgpr 29
		.amdhsa_next_free_sgpr 16
		.amdhsa_reserve_vcc 1
		.amdhsa_float_round_mode_32 0
		.amdhsa_float_round_mode_16_64 0
		.amdhsa_float_denorm_mode_32 3
		.amdhsa_float_denorm_mode_16_64 3
		.amdhsa_dx10_clamp 1
		.amdhsa_ieee_mode 1
		.amdhsa_fp16_overflow 0
		.amdhsa_workgroup_processor_mode 1
		.amdhsa_memory_ordered 1
		.amdhsa_forward_progress 0
		.amdhsa_shared_vgpr_count 0
		.amdhsa_exception_fp_ieee_invalid_op 0
		.amdhsa_exception_fp_denorm_src 0
		.amdhsa_exception_fp_ieee_div_zero 0
		.amdhsa_exception_fp_ieee_overflow 0
		.amdhsa_exception_fp_ieee_underflow 0
		.amdhsa_exception_fp_ieee_inexact 0
		.amdhsa_exception_int_div_zero 0
	.end_amdhsa_kernel
	.section	.text._Z30block_run_length_decode_kernelIdcLj256ELj4ELj4EEvPKT_PKT0_PS0_PS3_,"axG",@progbits,_Z30block_run_length_decode_kernelIdcLj256ELj4ELj4EEvPKT_PKT0_PS0_PS3_,comdat
.Lfunc_end22:
	.size	_Z30block_run_length_decode_kernelIdcLj256ELj4ELj4EEvPKT_PKT0_PS0_PS3_, .Lfunc_end22-_Z30block_run_length_decode_kernelIdcLj256ELj4ELj4EEvPKT_PKT0_PS0_PS3_
                                        ; -- End function
	.section	.AMDGPU.csdata,"",@progbits
; Kernel info:
; codeLenInByte = 2512
; NumSgprs: 18
; NumVgprs: 29
; ScratchSize: 0
; MemoryBound: 0
; FloatMode: 240
; IeeeMode: 1
; LDSByteSize: 12288 bytes/workgroup (compile time only)
; SGPRBlocks: 2
; VGPRBlocks: 3
; NumSGPRsForWavesPerEU: 18
; NumVGPRsForWavesPerEU: 29
; Occupancy: 16
; WaveLimiterHint : 0
; COMPUTE_PGM_RSRC2:SCRATCH_EN: 0
; COMPUTE_PGM_RSRC2:USER_SGPR: 15
; COMPUTE_PGM_RSRC2:TRAP_HANDLER: 0
; COMPUTE_PGM_RSRC2:TGID_X_EN: 1
; COMPUTE_PGM_RSRC2:TGID_Y_EN: 0
; COMPUTE_PGM_RSRC2:TGID_Z_EN: 0
; COMPUTE_PGM_RSRC2:TIDIG_COMP_CNT: 0
	.section	.text._Z30block_run_length_decode_kernelIhiLj256ELj4ELj4EEvPKT_PKT0_PS0_PS3_,"axG",@progbits,_Z30block_run_length_decode_kernelIhiLj256ELj4ELj4EEvPKT_PKT0_PS0_PS3_,comdat
	.protected	_Z30block_run_length_decode_kernelIhiLj256ELj4ELj4EEvPKT_PKT0_PS0_PS3_ ; -- Begin function _Z30block_run_length_decode_kernelIhiLj256ELj4ELj4EEvPKT_PKT0_PS0_PS3_
	.globl	_Z30block_run_length_decode_kernelIhiLj256ELj4ELj4EEvPKT_PKT0_PS0_PS3_
	.p2align	8
	.type	_Z30block_run_length_decode_kernelIhiLj256ELj4ELj4EEvPKT_PKT0_PS0_PS3_,@function
_Z30block_run_length_decode_kernelIhiLj256ELj4ELj4EEvPKT_PKT0_PS0_PS3_: ; @_Z30block_run_length_decode_kernelIhiLj256ELj4ELj4EEvPKT_PKT0_PS0_PS3_
; %bb.0:
	s_load_b256 s[0:7], s[0:1], 0x0
	v_lshlrev_b32_e32 v10, 2, v0
	v_mov_b32_e32 v6, 0
	v_mbcnt_lo_u32_b32 v9, -1, 0
	v_or_b32_e32 v13, 31, v0
	s_delay_alu instid0(VALU_DEP_4) | instskip(NEXT) | instid1(VALU_DEP_1)
	v_lshl_or_b32 v5, s15, 10, v10
	v_lshlrev_b64 v[6:7], 2, v[5:6]
	s_waitcnt lgkmcnt(0)
	s_delay_alu instid0(VALU_DEP_1) | instskip(NEXT) | instid1(VALU_DEP_2)
	v_add_co_u32 v1, vcc_lo, s2, v6
	v_add_co_ci_u32_e32 v2, vcc_lo, s3, v7, vcc_lo
	global_load_b128 v[1:4], v[1:2], off
	global_load_b32 v8, v5, s[0:1]
	s_mov_b32 s0, exec_lo
	s_waitcnt vmcnt(1)
	v_add_nc_u32_e32 v11, v2, v1
	s_delay_alu instid0(VALU_DEP_1) | instskip(NEXT) | instid1(VALU_DEP_1)
	v_add3_u32 v4, v11, v3, v4
	v_mov_b32_dpp v12, v4 row_shr:1 row_mask:0xf bank_mask:0xf
	v_and_b32_e32 v11, 15, v9
	s_delay_alu instid0(VALU_DEP_1) | instskip(NEXT) | instid1(VALU_DEP_3)
	v_cmp_ne_u32_e32 vcc_lo, 0, v11
	v_cndmask_b32_e32 v12, 0, v12, vcc_lo
	v_cmp_lt_u32_e32 vcc_lo, 1, v11
	s_delay_alu instid0(VALU_DEP_2) | instskip(NEXT) | instid1(VALU_DEP_1)
	v_add_nc_u32_e32 v4, v12, v4
	v_mov_b32_dpp v12, v4 row_shr:2 row_mask:0xf bank_mask:0xf
	s_delay_alu instid0(VALU_DEP_1) | instskip(SKIP_1) | instid1(VALU_DEP_2)
	v_cndmask_b32_e32 v12, 0, v12, vcc_lo
	v_cmp_lt_u32_e32 vcc_lo, 3, v11
	v_add_nc_u32_e32 v4, v4, v12
	s_delay_alu instid0(VALU_DEP_1) | instskip(NEXT) | instid1(VALU_DEP_1)
	v_mov_b32_dpp v12, v4 row_shr:4 row_mask:0xf bank_mask:0xf
	v_cndmask_b32_e32 v12, 0, v12, vcc_lo
	v_cmp_lt_u32_e32 vcc_lo, 7, v11
	s_delay_alu instid0(VALU_DEP_2) | instskip(NEXT) | instid1(VALU_DEP_1)
	v_add_nc_u32_e32 v4, v4, v12
	v_mov_b32_dpp v12, v4 row_shr:8 row_mask:0xf bank_mask:0xf
	s_delay_alu instid0(VALU_DEP_1) | instskip(SKIP_1) | instid1(VALU_DEP_2)
	v_cndmask_b32_e32 v11, 0, v12, vcc_lo
	v_bfe_i32 v12, v9, 4, 1
	v_add_nc_u32_e32 v4, v4, v11
	ds_swizzle_b32 v11, v4 offset:swizzle(BROADCAST,32,15)
	s_waitcnt lgkmcnt(0)
	v_and_b32_e32 v12, v12, v11
	v_lshrrev_b32_e32 v11, 5, v0
	s_delay_alu instid0(VALU_DEP_2)
	v_add_nc_u32_e32 v4, v4, v12
	v_cmpx_eq_u32_e64 v13, v0
	s_cbranch_execz .LBB23_2
; %bb.1:
	s_delay_alu instid0(VALU_DEP_3)
	v_lshlrev_b32_e32 v12, 2, v11
	ds_store_b32 v12, v4
.LBB23_2:
	s_or_b32 exec_lo, exec_lo, s0
	s_delay_alu instid0(SALU_CYCLE_1)
	s_mov_b32 s0, exec_lo
	s_waitcnt vmcnt(0) lgkmcnt(0)
	s_barrier
	buffer_gl0_inv
	v_cmpx_gt_u32_e32 8, v0
	s_cbranch_execz .LBB23_4
; %bb.3:
	ds_load_b32 v12, v10
	s_waitcnt lgkmcnt(0)
	v_mov_b32_dpp v14, v12 row_shr:1 row_mask:0xf bank_mask:0xf
	v_and_b32_e32 v13, 7, v9
	s_delay_alu instid0(VALU_DEP_1) | instskip(NEXT) | instid1(VALU_DEP_3)
	v_cmp_ne_u32_e32 vcc_lo, 0, v13
	v_cndmask_b32_e32 v14, 0, v14, vcc_lo
	v_cmp_lt_u32_e32 vcc_lo, 1, v13
	s_delay_alu instid0(VALU_DEP_2) | instskip(NEXT) | instid1(VALU_DEP_1)
	v_add_nc_u32_e32 v12, v14, v12
	v_mov_b32_dpp v14, v12 row_shr:2 row_mask:0xf bank_mask:0xf
	s_delay_alu instid0(VALU_DEP_1) | instskip(SKIP_1) | instid1(VALU_DEP_2)
	v_cndmask_b32_e32 v14, 0, v14, vcc_lo
	v_cmp_lt_u32_e32 vcc_lo, 3, v13
	v_add_nc_u32_e32 v12, v12, v14
	s_delay_alu instid0(VALU_DEP_1) | instskip(NEXT) | instid1(VALU_DEP_1)
	v_mov_b32_dpp v14, v12 row_shr:4 row_mask:0xf bank_mask:0xf
	v_cndmask_b32_e32 v13, 0, v14, vcc_lo
	s_delay_alu instid0(VALU_DEP_1)
	v_add_nc_u32_e32 v12, v12, v13
	ds_store_b32 v10, v12
.LBB23_4:
	s_or_b32 exec_lo, exec_lo, s0
	v_dual_mov_b32 v12, 0 :: v_dual_mov_b32 v13, 0
	s_mov_b32 s0, exec_lo
	s_waitcnt lgkmcnt(0)
	s_barrier
	buffer_gl0_inv
	v_cmpx_lt_u32_e32 31, v0
	s_cbranch_execz .LBB23_6
; %bb.5:
	v_lshl_add_u32 v11, v11, 2, -4
	ds_load_b32 v13, v11
.LBB23_6:
	s_or_b32 exec_lo, exec_lo, s0
	v_add_nc_u32_e32 v11, -1, v9
	s_waitcnt lgkmcnt(0)
	v_add_nc_u32_e32 v4, v13, v4
	s_delay_alu instid0(VALU_DEP_2) | instskip(SKIP_2) | instid1(VALU_DEP_2)
	v_cmp_gt_i32_e32 vcc_lo, 0, v11
	v_cndmask_b32_e32 v11, v11, v9, vcc_lo
	v_cmp_eq_u32_e32 vcc_lo, 0, v9
	v_lshlrev_b32_e32 v11, 2, v11
	ds_bpermute_b32 v4, v11, v4
	ds_load_b32 v11, v12 offset:28
	s_waitcnt lgkmcnt(0)
	s_barrier
	buffer_gl0_inv
	v_cndmask_b32_e32 v4, v4, v13, vcc_lo
	v_cmp_ne_u32_e32 vcc_lo, 0, v0
	v_readfirstlane_b32 s3, v11
	s_delay_alu instid0(VALU_DEP_3) | instskip(SKIP_2) | instid1(VALU_DEP_3)
	v_cndmask_b32_e32 v0, 0, v4, vcc_lo
	v_lshlrev_b32_e32 v4, 2, v10
	v_cmp_eq_u32_e32 vcc_lo, 0, v11
	v_add_nc_u32_e32 v1, v0, v1
	s_delay_alu instid0(VALU_DEP_3) | instskip(SKIP_2) | instid1(VALU_DEP_3)
	v_add_nc_u32_e32 v9, 0x400, v4
	v_add_nc_u32_e32 v4, 0x408, v4
	s_and_b32 vcc_lo, exec_lo, vcc_lo
	v_add_nc_u32_e32 v2, v1, v2
	s_delay_alu instid0(VALU_DEP_1)
	v_add_nc_u32_e32 v3, v2, v3
	ds_store_2addr_b32 v9, v0, v1 offset1:1
	ds_store_b32 v10, v8
	ds_store_2addr_b32 v4, v2, v3 offset1:1
	s_waitcnt lgkmcnt(0)
	s_barrier
	buffer_gl0_inv
	s_cbranch_vccnz .LBB23_31
; %bb.7:
	v_dual_mov_b32 v0, 0 :: v_dual_mov_b32 v17, 0x200
	v_add_co_u32 v12, s0, s4, v5
	s_delay_alu instid0(VALU_DEP_1) | instskip(SKIP_4) | instid1(VALU_DEP_3)
	v_add_co_ci_u32_e64 v13, null, s5, 0, s0
	ds_load_b32 v11, v0 offset:3072
	v_add_co_u32 v0, vcc_lo, v6, s6
	v_add_co_ci_u32_e32 v1, vcc_lo, s7, v7, vcc_lo
	v_or_b32_e32 v14, 1, v5
	v_add_co_u32 v0, vcc_lo, v0, 8
	v_or_b32_e32 v15, 2, v5
	v_or_b32_e32 v16, 3, v5
	v_add_co_ci_u32_e32 v1, vcc_lo, 0, v1, vcc_lo
	v_mov_b32_e32 v18, 0x100
	s_mov_b64 s[4:5], 0
	s_mov_b32 s6, s3
	s_branch .LBB23_9
.LBB23_8:                               ;   in Loop: Header=BB23_9 Depth=1
	s_or_b32 exec_lo, exec_lo, s0
	v_add_co_u32 v0, vcc_lo, 0x1000, v0
	v_add_co_ci_u32_e32 v1, vcc_lo, 0, v1, vcc_lo
	s_add_u32 s4, s4, 0x400
	s_addc_u32 s5, s5, 0
	s_addk_i32 s6, 0xfc00
	s_cmp_lt_u32 s4, s3
	s_cbranch_scc0 .LBB23_31
.LBB23_9:                               ; =>This Inner Loop Header: Depth=1
	v_add_co_u32 v19, s0, v10, s4
	s_delay_alu instid0(VALU_DEP_1) | instskip(SKIP_1) | instid1(VALU_DEP_2)
	v_add_co_ci_u32_e64 v2, null, 0, s5, s0
	s_waitcnt lgkmcnt(0)
	v_cmp_gt_u32_e32 vcc_lo, v11, v19
	v_cndmask_b32_e32 v3, 0x300, v18, vcc_lo
	v_cndmask_b32_e64 v2, 0x201, 0, vcc_lo
	v_cndmask_b32_e32 v6, 0x400, v17, vcc_lo
	s_delay_alu instid0(VALU_DEP_3)
	v_lshlrev_b32_e32 v4, 2, v3
	v_or_b32_e32 v7, 1, v3
	ds_load_b32 v4, v4 offset:1024
	s_waitcnt lgkmcnt(0)
	v_cmp_gt_u32_e32 vcc_lo, v4, v19
	v_dual_cndmask_b32 v2, v7, v2 :: v_dual_cndmask_b32 v3, v6, v3
	s_delay_alu instid0(VALU_DEP_1) | instskip(NEXT) | instid1(VALU_DEP_1)
	v_sub_nc_u32_e32 v4, v3, v2
	v_lshrrev_b16 v6, 15, v4
	s_delay_alu instid0(VALU_DEP_1) | instskip(NEXT) | instid1(VALU_DEP_1)
	v_add_nc_u16 v4, v4, v6
	v_ashrrev_i16 v4, 1, v4
	s_delay_alu instid0(VALU_DEP_1) | instskip(NEXT) | instid1(VALU_DEP_1)
	v_bfe_i32 v4, v4, 0, 16
	v_add_nc_u32_e32 v4, v2, v4
	s_delay_alu instid0(VALU_DEP_1) | instskip(NEXT) | instid1(VALU_DEP_1)
	v_min_i32_e32 v4, 0x3ff, v4
	v_lshlrev_b32_e32 v6, 2, v4
	v_add_nc_u32_e32 v7, 1, v4
	ds_load_b32 v6, v6 offset:1024
	s_waitcnt lgkmcnt(0)
	v_cmp_gt_u32_e32 vcc_lo, v6, v19
	v_cndmask_b32_e32 v2, v7, v2, vcc_lo
	v_cndmask_b32_e32 v3, v3, v4, vcc_lo
	s_delay_alu instid0(VALU_DEP_1) | instskip(NEXT) | instid1(VALU_DEP_1)
	v_sub_nc_u32_e32 v4, v3, v2
	v_lshrrev_b16 v6, 15, v4
	s_delay_alu instid0(VALU_DEP_1) | instskip(NEXT) | instid1(VALU_DEP_1)
	v_add_nc_u16 v4, v4, v6
	v_ashrrev_i16 v4, 1, v4
	s_delay_alu instid0(VALU_DEP_1) | instskip(NEXT) | instid1(VALU_DEP_1)
	v_bfe_i32 v4, v4, 0, 16
	v_add_nc_u32_e32 v4, v2, v4
	s_delay_alu instid0(VALU_DEP_1) | instskip(NEXT) | instid1(VALU_DEP_1)
	v_min_i32_e32 v4, 0x3ff, v4
	v_lshlrev_b32_e32 v6, 2, v4
	v_add_nc_u32_e32 v7, 1, v4
	ds_load_b32 v6, v6 offset:1024
	s_waitcnt lgkmcnt(0)
	v_cmp_gt_u32_e32 vcc_lo, v6, v19
	v_cndmask_b32_e32 v2, v7, v2, vcc_lo
	v_cndmask_b32_e32 v3, v3, v4, vcc_lo
	;; [unrolled: 18-line block ×4, first 2 shown]
	s_delay_alu instid0(VALU_DEP_1) | instskip(NEXT) | instid1(VALU_DEP_1)
	v_sub_nc_u32_e32 v4, v3, v2
	v_lshrrev_b16 v6, 15, v4
	s_delay_alu instid0(VALU_DEP_1) | instskip(NEXT) | instid1(VALU_DEP_1)
	v_add_nc_u16 v4, v4, v6
	v_ashrrev_i16 v4, 1, v4
	s_delay_alu instid0(VALU_DEP_1) | instskip(NEXT) | instid1(VALU_DEP_1)
	v_bfe_i32 v4, v4, 0, 16
	v_add_nc_u32_e32 v4, v2, v4
	s_delay_alu instid0(VALU_DEP_1) | instskip(NEXT) | instid1(VALU_DEP_1)
	v_min_i32_e32 v4, 0x3ff, v4
	v_add_nc_u32_e32 v7, 1, v4
	v_lshlrev_b32_e32 v6, 2, v4
	ds_load_b32 v6, v6 offset:1024
	s_waitcnt lgkmcnt(0)
	v_cmp_gt_u32_e32 vcc_lo, v6, v19
	v_cndmask_b32_e32 v2, v7, v2, vcc_lo
	v_cndmask_b32_e32 v3, v3, v4, vcc_lo
	s_delay_alu instid0(VALU_DEP_1) | instskip(NEXT) | instid1(VALU_DEP_1)
	v_sub_nc_u32_e32 v4, v3, v2
	v_lshrrev_b16 v6, 15, v4
	s_delay_alu instid0(VALU_DEP_1) | instskip(NEXT) | instid1(VALU_DEP_1)
	v_add_nc_u16 v4, v4, v6
	v_ashrrev_i16 v4, 1, v4
	s_delay_alu instid0(VALU_DEP_1) | instskip(NEXT) | instid1(VALU_DEP_1)
	v_bfe_i32 v4, v4, 0, 16
	v_add_nc_u32_e32 v4, v2, v4
	s_delay_alu instid0(VALU_DEP_1) | instskip(NEXT) | instid1(VALU_DEP_1)
	v_min_i32_e32 v4, 0x3ff, v4
	v_add_nc_u32_e32 v7, 1, v4
	v_lshlrev_b32_e32 v6, 2, v4
	ds_load_b32 v6, v6 offset:1024
	s_waitcnt lgkmcnt(0)
	v_cmp_gt_u32_e32 vcc_lo, v6, v19
	v_cndmask_b32_e32 v2, v7, v2, vcc_lo
	v_cndmask_b32_e32 v3, v3, v4, vcc_lo
	;; [unrolled: 18-line block ×4, first 2 shown]
	s_delay_alu instid0(VALU_DEP_1) | instskip(NEXT) | instid1(VALU_DEP_1)
	v_sub_nc_u32_e32 v3, v3, v2
	v_lshrrev_b16 v4, 15, v3
	s_delay_alu instid0(VALU_DEP_1) | instskip(NEXT) | instid1(VALU_DEP_1)
	v_add_nc_u16 v3, v3, v4
	v_ashrrev_i16 v3, 1, v3
	s_delay_alu instid0(VALU_DEP_1) | instskip(NEXT) | instid1(VALU_DEP_1)
	v_bfe_i32 v3, v3, 0, 16
	v_add_nc_u32_e32 v3, v2, v3
	s_delay_alu instid0(VALU_DEP_1) | instskip(NEXT) | instid1(VALU_DEP_1)
	v_min_i32_e32 v3, 0x3ff, v3
	v_lshlrev_b32_e32 v4, 2, v3
	v_add_nc_u32_e32 v3, 1, v3
	ds_load_b32 v4, v4 offset:1024
	s_waitcnt lgkmcnt(0)
	v_cmp_gt_u32_e32 vcc_lo, v4, v19
	v_dual_cndmask_b32 v22, v3, v2 :: v_dual_add_nc_u32 v3, 1, v19
	s_delay_alu instid0(VALU_DEP_1) | instskip(NEXT) | instid1(VALU_DEP_1)
	v_lshlrev_b32_e32 v6, 2, v22
	v_add_nc_u32_e32 v2, 0x3fc, v6
	ds_load_2addr_b32 v[8:9], v2 offset1:1
	v_add_nc_u32_e32 v2, -1, v22
	ds_load_u8 v20, v2
	s_waitcnt lgkmcnt(1)
	v_sub_nc_u32_e32 v2, 0, v8
	s_delay_alu instid0(VALU_DEP_1) | instskip(SKIP_3) | instid1(VALU_DEP_3)
	v_add_co_u32 v2, vcc_lo, v19, v2
	v_cmp_eq_u32_e32 vcc_lo, v3, v9
	s_waitcnt lgkmcnt(0)
	v_dual_mov_b32 v4, v3 :: v_dual_mov_b32 v21, v20
	v_mov_b32_e32 v3, v2
	s_and_saveexec_b32 s0, vcc_lo
	s_cbranch_execz .LBB23_11
; %bb.10:                               ;   in Loop: Header=BB23_9 Depth=1
	ds_load_b32 v4, v6 offset:1028
	ds_load_u8 v21, v22
	v_sub_nc_u32_e32 v3, 0, v9
	v_add_nc_u32_e32 v22, 1, v22
	s_delay_alu instid0(VALU_DEP_2)
	v_add_co_u32 v3, vcc_lo, v19, v3
	s_waitcnt lgkmcnt(1)
	v_mov_b32_e32 v9, v4
.LBB23_11:                              ;   in Loop: Header=BB23_9 Depth=1
	s_or_b32 exec_lo, exec_lo, s0
	v_dual_mov_b32 v7, v4 :: v_dual_add_nc_u32 v8, 2, v19
	v_mov_b32_e32 v6, v3
	s_waitcnt lgkmcnt(0)
	v_mov_b32_e32 v4, v21
	s_mov_b32 s0, exec_lo
	v_cmpx_eq_u32_e64 v8, v9
	s_cbranch_execz .LBB23_13
; %bb.12:                               ;   in Loop: Header=BB23_9 Depth=1
	v_add_nc_u32_e32 v7, 1, v22
	v_sub_nc_u32_e32 v6, 0, v9
	s_delay_alu instid0(VALU_DEP_2) | instskip(NEXT) | instid1(VALU_DEP_2)
	v_lshlrev_b32_e32 v4, 2, v7
	v_add_co_u32 v6, vcc_lo, v19, v6
	ds_load_b32 v8, v4 offset:1024
	ds_load_u8 v4, v22
	s_waitcnt lgkmcnt(1)
	v_dual_mov_b32 v22, v7 :: v_dual_mov_b32 v9, v8
.LBB23_13:                              ;   in Loop: Header=BB23_9 Depth=1
	s_or_b32 exec_lo, exec_lo, s0
	v_dual_mov_b32 v8, v7 :: v_dual_add_nc_u32 v23, 3, v19
	v_mov_b32_e32 v7, v6
	s_delay_alu instid0(VALU_DEP_2)
	v_cmp_eq_u32_e32 vcc_lo, v23, v9
	s_waitcnt lgkmcnt(0)
	v_mov_b32_e32 v23, v4
	s_and_saveexec_b32 s0, vcc_lo
	s_cbranch_execz .LBB23_15
; %bb.14:                               ;   in Loop: Header=BB23_9 Depth=1
	v_lshlrev_b32_e32 v7, 2, v22
	ds_load_b32 v7, v7 offset:1024
	ds_load_u8 v23, v22
	s_waitcnt lgkmcnt(1)
	v_sub_nc_u32_e32 v7, 0, v7
	s_delay_alu instid0(VALU_DEP_1)
	v_add_co_u32 v7, vcc_lo, v19, v7
.LBB23_15:                              ;   in Loop: Header=BB23_9 Depth=1
	s_or_b32 exec_lo, exec_lo, s0
	v_add_co_u32 v8, vcc_lo, v12, s4
	s_min_u32 s2, s6, 0x400
	v_add_co_ci_u32_e32 v9, vcc_lo, s5, v13, vcc_lo
	v_cmp_gt_u32_e32 vcc_lo, s2, v5
	s_and_saveexec_b32 s0, vcc_lo
	s_cbranch_execnz .LBB23_23
; %bb.16:                               ;   in Loop: Header=BB23_9 Depth=1
	s_or_b32 exec_lo, exec_lo, s0
	v_cmp_gt_u32_e64 s0, s2, v14
	s_delay_alu instid0(VALU_DEP_1)
	s_and_saveexec_b32 s1, s0
	s_cbranch_execnz .LBB23_24
.LBB23_17:                              ;   in Loop: Header=BB23_9 Depth=1
	s_or_b32 exec_lo, exec_lo, s1
	v_cmp_gt_u32_e64 s1, s2, v15
	s_delay_alu instid0(VALU_DEP_1)
	s_and_saveexec_b32 s7, s1
	s_cbranch_execnz .LBB23_25
.LBB23_18:                              ;   in Loop: Header=BB23_9 Depth=1
	s_or_b32 exec_lo, exec_lo, s7
	v_cmp_gt_u32_e64 s2, s2, v16
	s_delay_alu instid0(VALU_DEP_1)
	s_and_saveexec_b32 s7, s2
	s_cbranch_execnz .LBB23_26
.LBB23_19:                              ;   in Loop: Header=BB23_9 Depth=1
	s_or_b32 exec_lo, exec_lo, s7
	s_and_saveexec_b32 s7, vcc_lo
	s_cbranch_execnz .LBB23_27
.LBB23_20:                              ;   in Loop: Header=BB23_9 Depth=1
	s_or_b32 exec_lo, exec_lo, s7
	s_and_saveexec_b32 s7, s0
	s_cbranch_execnz .LBB23_28
.LBB23_21:                              ;   in Loop: Header=BB23_9 Depth=1
	s_or_b32 exec_lo, exec_lo, s7
	s_and_saveexec_b32 s0, s1
	s_cbranch_execnz .LBB23_29
.LBB23_22:                              ;   in Loop: Header=BB23_9 Depth=1
	s_or_b32 exec_lo, exec_lo, s0
	s_and_saveexec_b32 s0, s2
	s_cbranch_execz .LBB23_8
	s_branch .LBB23_30
.LBB23_23:                              ;   in Loop: Header=BB23_9 Depth=1
	global_store_b8 v[8:9], v20, off
	s_or_b32 exec_lo, exec_lo, s0
	v_cmp_gt_u32_e64 s0, s2, v14
	s_delay_alu instid0(VALU_DEP_1)
	s_and_saveexec_b32 s1, s0
	s_cbranch_execz .LBB23_17
.LBB23_24:                              ;   in Loop: Header=BB23_9 Depth=1
	global_store_b8 v[8:9], v21, off offset:1
	s_or_b32 exec_lo, exec_lo, s1
	v_cmp_gt_u32_e64 s1, s2, v15
	s_delay_alu instid0(VALU_DEP_1)
	s_and_saveexec_b32 s7, s1
	s_cbranch_execz .LBB23_18
.LBB23_25:                              ;   in Loop: Header=BB23_9 Depth=1
	global_store_b8 v[8:9], v4, off offset:2
	s_or_b32 exec_lo, exec_lo, s7
	v_cmp_gt_u32_e64 s2, s2, v16
	s_delay_alu instid0(VALU_DEP_1)
	s_and_saveexec_b32 s7, s2
	s_cbranch_execz .LBB23_19
.LBB23_26:                              ;   in Loop: Header=BB23_9 Depth=1
	s_waitcnt lgkmcnt(0)
	global_store_b8 v[8:9], v23, off offset:3
	s_or_b32 exec_lo, exec_lo, s7
	s_and_saveexec_b32 s7, vcc_lo
	s_cbranch_execz .LBB23_20
.LBB23_27:                              ;   in Loop: Header=BB23_9 Depth=1
	global_store_b32 v[0:1], v2, off offset:-8
	s_or_b32 exec_lo, exec_lo, s7
	s_and_saveexec_b32 s7, s0
	s_cbranch_execz .LBB23_21
.LBB23_28:                              ;   in Loop: Header=BB23_9 Depth=1
	v_add_nc_u32_e32 v2, 1, v3
	global_store_b32 v[0:1], v2, off offset:-4
	s_or_b32 exec_lo, exec_lo, s7
	s_and_saveexec_b32 s0, s1
	s_cbranch_execz .LBB23_22
.LBB23_29:                              ;   in Loop: Header=BB23_9 Depth=1
	v_add_nc_u32_e32 v2, 2, v6
	global_store_b32 v[0:1], v2, off
	s_or_b32 exec_lo, exec_lo, s0
	s_and_saveexec_b32 s0, s2
	s_cbranch_execz .LBB23_8
.LBB23_30:                              ;   in Loop: Header=BB23_9 Depth=1
	v_add_nc_u32_e32 v2, 3, v7
	global_store_b32 v[0:1], v2, off offset:4
	s_branch .LBB23_8
.LBB23_31:
	s_nop 0
	s_sendmsg sendmsg(MSG_DEALLOC_VGPRS)
	s_endpgm
	.section	.rodata,"a",@progbits
	.p2align	6, 0x0
	.amdhsa_kernel _Z30block_run_length_decode_kernelIhiLj256ELj4ELj4EEvPKT_PKT0_PS0_PS3_
		.amdhsa_group_segment_fixed_size 5120
		.amdhsa_private_segment_fixed_size 0
		.amdhsa_kernarg_size 32
		.amdhsa_user_sgpr_count 15
		.amdhsa_user_sgpr_dispatch_ptr 0
		.amdhsa_user_sgpr_queue_ptr 0
		.amdhsa_user_sgpr_kernarg_segment_ptr 1
		.amdhsa_user_sgpr_dispatch_id 0
		.amdhsa_user_sgpr_private_segment_size 0
		.amdhsa_wavefront_size32 1
		.amdhsa_uses_dynamic_stack 0
		.amdhsa_enable_private_segment 0
		.amdhsa_system_sgpr_workgroup_id_x 1
		.amdhsa_system_sgpr_workgroup_id_y 0
		.amdhsa_system_sgpr_workgroup_id_z 0
		.amdhsa_system_sgpr_workgroup_info 0
		.amdhsa_system_vgpr_workitem_id 0
		.amdhsa_next_free_vgpr 24
		.amdhsa_next_free_sgpr 16
		.amdhsa_reserve_vcc 1
		.amdhsa_float_round_mode_32 0
		.amdhsa_float_round_mode_16_64 0
		.amdhsa_float_denorm_mode_32 3
		.amdhsa_float_denorm_mode_16_64 3
		.amdhsa_dx10_clamp 1
		.amdhsa_ieee_mode 1
		.amdhsa_fp16_overflow 0
		.amdhsa_workgroup_processor_mode 1
		.amdhsa_memory_ordered 1
		.amdhsa_forward_progress 0
		.amdhsa_shared_vgpr_count 0
		.amdhsa_exception_fp_ieee_invalid_op 0
		.amdhsa_exception_fp_denorm_src 0
		.amdhsa_exception_fp_ieee_div_zero 0
		.amdhsa_exception_fp_ieee_overflow 0
		.amdhsa_exception_fp_ieee_underflow 0
		.amdhsa_exception_fp_ieee_inexact 0
		.amdhsa_exception_int_div_zero 0
	.end_amdhsa_kernel
	.section	.text._Z30block_run_length_decode_kernelIhiLj256ELj4ELj4EEvPKT_PKT0_PS0_PS3_,"axG",@progbits,_Z30block_run_length_decode_kernelIhiLj256ELj4ELj4EEvPKT_PKT0_PS0_PS3_,comdat
.Lfunc_end23:
	.size	_Z30block_run_length_decode_kernelIhiLj256ELj4ELj4EEvPKT_PKT0_PS0_PS3_, .Lfunc_end23-_Z30block_run_length_decode_kernelIhiLj256ELj4ELj4EEvPKT_PKT0_PS0_PS3_
                                        ; -- End function
	.section	.AMDGPU.csdata,"",@progbits
; Kernel info:
; codeLenInByte = 2428
; NumSgprs: 18
; NumVgprs: 24
; ScratchSize: 0
; MemoryBound: 0
; FloatMode: 240
; IeeeMode: 1
; LDSByteSize: 5120 bytes/workgroup (compile time only)
; SGPRBlocks: 2
; VGPRBlocks: 2
; NumSGPRsForWavesPerEU: 18
; NumVGPRsForWavesPerEU: 24
; Occupancy: 16
; WaveLimiterHint : 0
; COMPUTE_PGM_RSRC2:SCRATCH_EN: 0
; COMPUTE_PGM_RSRC2:USER_SGPR: 15
; COMPUTE_PGM_RSRC2:TRAP_HANDLER: 0
; COMPUTE_PGM_RSRC2:TGID_X_EN: 1
; COMPUTE_PGM_RSRC2:TGID_Y_EN: 0
; COMPUTE_PGM_RSRC2:TGID_Z_EN: 0
; COMPUTE_PGM_RSRC2:TIDIG_COMP_CNT: 0
	.section	.text._Z30block_run_length_decode_kernelIaiLj256ELj4ELj4EEvPKT_PKT0_PS0_PS3_,"axG",@progbits,_Z30block_run_length_decode_kernelIaiLj256ELj4ELj4EEvPKT_PKT0_PS0_PS3_,comdat
	.protected	_Z30block_run_length_decode_kernelIaiLj256ELj4ELj4EEvPKT_PKT0_PS0_PS3_ ; -- Begin function _Z30block_run_length_decode_kernelIaiLj256ELj4ELj4EEvPKT_PKT0_PS0_PS3_
	.globl	_Z30block_run_length_decode_kernelIaiLj256ELj4ELj4EEvPKT_PKT0_PS0_PS3_
	.p2align	8
	.type	_Z30block_run_length_decode_kernelIaiLj256ELj4ELj4EEvPKT_PKT0_PS0_PS3_,@function
_Z30block_run_length_decode_kernelIaiLj256ELj4ELj4EEvPKT_PKT0_PS0_PS3_: ; @_Z30block_run_length_decode_kernelIaiLj256ELj4ELj4EEvPKT_PKT0_PS0_PS3_
; %bb.0:
	s_load_b256 s[0:7], s[0:1], 0x0
	v_lshlrev_b32_e32 v10, 2, v0
	v_mov_b32_e32 v6, 0
	v_mbcnt_lo_u32_b32 v9, -1, 0
	v_or_b32_e32 v13, 31, v0
	s_delay_alu instid0(VALU_DEP_4) | instskip(NEXT) | instid1(VALU_DEP_1)
	v_lshl_or_b32 v5, s15, 10, v10
	v_lshlrev_b64 v[6:7], 2, v[5:6]
	s_waitcnt lgkmcnt(0)
	s_delay_alu instid0(VALU_DEP_1) | instskip(NEXT) | instid1(VALU_DEP_2)
	v_add_co_u32 v1, vcc_lo, s2, v6
	v_add_co_ci_u32_e32 v2, vcc_lo, s3, v7, vcc_lo
	global_load_b128 v[1:4], v[1:2], off
	global_load_b32 v8, v5, s[0:1]
	s_mov_b32 s0, exec_lo
	s_waitcnt vmcnt(1)
	v_add_nc_u32_e32 v11, v2, v1
	s_delay_alu instid0(VALU_DEP_1) | instskip(NEXT) | instid1(VALU_DEP_1)
	v_add3_u32 v4, v11, v3, v4
	v_mov_b32_dpp v12, v4 row_shr:1 row_mask:0xf bank_mask:0xf
	v_and_b32_e32 v11, 15, v9
	s_delay_alu instid0(VALU_DEP_1) | instskip(NEXT) | instid1(VALU_DEP_3)
	v_cmp_ne_u32_e32 vcc_lo, 0, v11
	v_cndmask_b32_e32 v12, 0, v12, vcc_lo
	v_cmp_lt_u32_e32 vcc_lo, 1, v11
	s_delay_alu instid0(VALU_DEP_2) | instskip(NEXT) | instid1(VALU_DEP_1)
	v_add_nc_u32_e32 v4, v12, v4
	v_mov_b32_dpp v12, v4 row_shr:2 row_mask:0xf bank_mask:0xf
	s_delay_alu instid0(VALU_DEP_1) | instskip(SKIP_1) | instid1(VALU_DEP_2)
	v_cndmask_b32_e32 v12, 0, v12, vcc_lo
	v_cmp_lt_u32_e32 vcc_lo, 3, v11
	v_add_nc_u32_e32 v4, v4, v12
	s_delay_alu instid0(VALU_DEP_1) | instskip(NEXT) | instid1(VALU_DEP_1)
	v_mov_b32_dpp v12, v4 row_shr:4 row_mask:0xf bank_mask:0xf
	v_cndmask_b32_e32 v12, 0, v12, vcc_lo
	v_cmp_lt_u32_e32 vcc_lo, 7, v11
	s_delay_alu instid0(VALU_DEP_2) | instskip(NEXT) | instid1(VALU_DEP_1)
	v_add_nc_u32_e32 v4, v4, v12
	v_mov_b32_dpp v12, v4 row_shr:8 row_mask:0xf bank_mask:0xf
	s_delay_alu instid0(VALU_DEP_1) | instskip(SKIP_1) | instid1(VALU_DEP_2)
	v_cndmask_b32_e32 v11, 0, v12, vcc_lo
	v_bfe_i32 v12, v9, 4, 1
	v_add_nc_u32_e32 v4, v4, v11
	ds_swizzle_b32 v11, v4 offset:swizzle(BROADCAST,32,15)
	s_waitcnt lgkmcnt(0)
	v_and_b32_e32 v12, v12, v11
	v_lshrrev_b32_e32 v11, 5, v0
	s_delay_alu instid0(VALU_DEP_2)
	v_add_nc_u32_e32 v4, v4, v12
	v_cmpx_eq_u32_e64 v13, v0
	s_cbranch_execz .LBB24_2
; %bb.1:
	s_delay_alu instid0(VALU_DEP_3)
	v_lshlrev_b32_e32 v12, 2, v11
	ds_store_b32 v12, v4
.LBB24_2:
	s_or_b32 exec_lo, exec_lo, s0
	s_delay_alu instid0(SALU_CYCLE_1)
	s_mov_b32 s0, exec_lo
	s_waitcnt vmcnt(0) lgkmcnt(0)
	s_barrier
	buffer_gl0_inv
	v_cmpx_gt_u32_e32 8, v0
	s_cbranch_execz .LBB24_4
; %bb.3:
	ds_load_b32 v12, v10
	s_waitcnt lgkmcnt(0)
	v_mov_b32_dpp v14, v12 row_shr:1 row_mask:0xf bank_mask:0xf
	v_and_b32_e32 v13, 7, v9
	s_delay_alu instid0(VALU_DEP_1) | instskip(NEXT) | instid1(VALU_DEP_3)
	v_cmp_ne_u32_e32 vcc_lo, 0, v13
	v_cndmask_b32_e32 v14, 0, v14, vcc_lo
	v_cmp_lt_u32_e32 vcc_lo, 1, v13
	s_delay_alu instid0(VALU_DEP_2) | instskip(NEXT) | instid1(VALU_DEP_1)
	v_add_nc_u32_e32 v12, v14, v12
	v_mov_b32_dpp v14, v12 row_shr:2 row_mask:0xf bank_mask:0xf
	s_delay_alu instid0(VALU_DEP_1) | instskip(SKIP_1) | instid1(VALU_DEP_2)
	v_cndmask_b32_e32 v14, 0, v14, vcc_lo
	v_cmp_lt_u32_e32 vcc_lo, 3, v13
	v_add_nc_u32_e32 v12, v12, v14
	s_delay_alu instid0(VALU_DEP_1) | instskip(NEXT) | instid1(VALU_DEP_1)
	v_mov_b32_dpp v14, v12 row_shr:4 row_mask:0xf bank_mask:0xf
	v_cndmask_b32_e32 v13, 0, v14, vcc_lo
	s_delay_alu instid0(VALU_DEP_1)
	v_add_nc_u32_e32 v12, v12, v13
	ds_store_b32 v10, v12
.LBB24_4:
	s_or_b32 exec_lo, exec_lo, s0
	v_dual_mov_b32 v12, 0 :: v_dual_mov_b32 v13, 0
	s_mov_b32 s0, exec_lo
	s_waitcnt lgkmcnt(0)
	s_barrier
	buffer_gl0_inv
	v_cmpx_lt_u32_e32 31, v0
	s_cbranch_execz .LBB24_6
; %bb.5:
	v_lshl_add_u32 v11, v11, 2, -4
	ds_load_b32 v13, v11
.LBB24_6:
	s_or_b32 exec_lo, exec_lo, s0
	v_add_nc_u32_e32 v11, -1, v9
	s_waitcnt lgkmcnt(0)
	v_add_nc_u32_e32 v4, v13, v4
	s_delay_alu instid0(VALU_DEP_2) | instskip(SKIP_2) | instid1(VALU_DEP_2)
	v_cmp_gt_i32_e32 vcc_lo, 0, v11
	v_cndmask_b32_e32 v11, v11, v9, vcc_lo
	v_cmp_eq_u32_e32 vcc_lo, 0, v9
	v_lshlrev_b32_e32 v11, 2, v11
	ds_bpermute_b32 v4, v11, v4
	ds_load_b32 v11, v12 offset:28
	s_waitcnt lgkmcnt(0)
	s_barrier
	buffer_gl0_inv
	v_cndmask_b32_e32 v4, v4, v13, vcc_lo
	v_cmp_ne_u32_e32 vcc_lo, 0, v0
	v_readfirstlane_b32 s3, v11
	s_delay_alu instid0(VALU_DEP_3) | instskip(SKIP_2) | instid1(VALU_DEP_3)
	v_cndmask_b32_e32 v0, 0, v4, vcc_lo
	v_lshlrev_b32_e32 v4, 2, v10
	v_cmp_eq_u32_e32 vcc_lo, 0, v11
	v_add_nc_u32_e32 v1, v0, v1
	s_delay_alu instid0(VALU_DEP_3) | instskip(SKIP_2) | instid1(VALU_DEP_3)
	v_add_nc_u32_e32 v9, 0x400, v4
	v_add_nc_u32_e32 v4, 0x408, v4
	s_and_b32 vcc_lo, exec_lo, vcc_lo
	v_add_nc_u32_e32 v2, v1, v2
	s_delay_alu instid0(VALU_DEP_1)
	v_add_nc_u32_e32 v3, v2, v3
	ds_store_2addr_b32 v9, v0, v1 offset1:1
	ds_store_b32 v10, v8
	ds_store_2addr_b32 v4, v2, v3 offset1:1
	s_waitcnt lgkmcnt(0)
	s_barrier
	buffer_gl0_inv
	s_cbranch_vccnz .LBB24_31
; %bb.7:
	v_dual_mov_b32 v0, 0 :: v_dual_mov_b32 v17, 0x200
	v_add_co_u32 v12, s0, s4, v5
	s_delay_alu instid0(VALU_DEP_1) | instskip(SKIP_4) | instid1(VALU_DEP_3)
	v_add_co_ci_u32_e64 v13, null, s5, 0, s0
	ds_load_b32 v11, v0 offset:3072
	v_add_co_u32 v0, vcc_lo, v6, s6
	v_add_co_ci_u32_e32 v1, vcc_lo, s7, v7, vcc_lo
	v_or_b32_e32 v14, 1, v5
	v_add_co_u32 v0, vcc_lo, v0, 8
	v_or_b32_e32 v15, 2, v5
	v_or_b32_e32 v16, 3, v5
	v_add_co_ci_u32_e32 v1, vcc_lo, 0, v1, vcc_lo
	v_mov_b32_e32 v18, 0x100
	s_mov_b64 s[4:5], 0
	s_mov_b32 s6, s3
	s_branch .LBB24_9
.LBB24_8:                               ;   in Loop: Header=BB24_9 Depth=1
	s_or_b32 exec_lo, exec_lo, s0
	v_add_co_u32 v0, vcc_lo, 0x1000, v0
	v_add_co_ci_u32_e32 v1, vcc_lo, 0, v1, vcc_lo
	s_add_u32 s4, s4, 0x400
	s_addc_u32 s5, s5, 0
	s_addk_i32 s6, 0xfc00
	s_cmp_lt_u32 s4, s3
	s_cbranch_scc0 .LBB24_31
.LBB24_9:                               ; =>This Inner Loop Header: Depth=1
	v_add_co_u32 v19, s0, v10, s4
	s_delay_alu instid0(VALU_DEP_1) | instskip(SKIP_1) | instid1(VALU_DEP_2)
	v_add_co_ci_u32_e64 v2, null, 0, s5, s0
	s_waitcnt lgkmcnt(0)
	v_cmp_gt_u32_e32 vcc_lo, v11, v19
	v_cndmask_b32_e32 v3, 0x300, v18, vcc_lo
	v_cndmask_b32_e64 v2, 0x201, 0, vcc_lo
	v_cndmask_b32_e32 v6, 0x400, v17, vcc_lo
	s_delay_alu instid0(VALU_DEP_3)
	v_lshlrev_b32_e32 v4, 2, v3
	v_or_b32_e32 v7, 1, v3
	ds_load_b32 v4, v4 offset:1024
	s_waitcnt lgkmcnt(0)
	v_cmp_gt_u32_e32 vcc_lo, v4, v19
	v_dual_cndmask_b32 v2, v7, v2 :: v_dual_cndmask_b32 v3, v6, v3
	s_delay_alu instid0(VALU_DEP_1) | instskip(NEXT) | instid1(VALU_DEP_1)
	v_sub_nc_u32_e32 v4, v3, v2
	v_lshrrev_b16 v6, 15, v4
	s_delay_alu instid0(VALU_DEP_1) | instskip(NEXT) | instid1(VALU_DEP_1)
	v_add_nc_u16 v4, v4, v6
	v_ashrrev_i16 v4, 1, v4
	s_delay_alu instid0(VALU_DEP_1) | instskip(NEXT) | instid1(VALU_DEP_1)
	v_bfe_i32 v4, v4, 0, 16
	v_add_nc_u32_e32 v4, v2, v4
	s_delay_alu instid0(VALU_DEP_1) | instskip(NEXT) | instid1(VALU_DEP_1)
	v_min_i32_e32 v4, 0x3ff, v4
	v_lshlrev_b32_e32 v6, 2, v4
	v_add_nc_u32_e32 v7, 1, v4
	ds_load_b32 v6, v6 offset:1024
	s_waitcnt lgkmcnt(0)
	v_cmp_gt_u32_e32 vcc_lo, v6, v19
	v_cndmask_b32_e32 v2, v7, v2, vcc_lo
	v_cndmask_b32_e32 v3, v3, v4, vcc_lo
	s_delay_alu instid0(VALU_DEP_1) | instskip(NEXT) | instid1(VALU_DEP_1)
	v_sub_nc_u32_e32 v4, v3, v2
	v_lshrrev_b16 v6, 15, v4
	s_delay_alu instid0(VALU_DEP_1) | instskip(NEXT) | instid1(VALU_DEP_1)
	v_add_nc_u16 v4, v4, v6
	v_ashrrev_i16 v4, 1, v4
	s_delay_alu instid0(VALU_DEP_1) | instskip(NEXT) | instid1(VALU_DEP_1)
	v_bfe_i32 v4, v4, 0, 16
	v_add_nc_u32_e32 v4, v2, v4
	s_delay_alu instid0(VALU_DEP_1) | instskip(NEXT) | instid1(VALU_DEP_1)
	v_min_i32_e32 v4, 0x3ff, v4
	v_lshlrev_b32_e32 v6, 2, v4
	v_add_nc_u32_e32 v7, 1, v4
	ds_load_b32 v6, v6 offset:1024
	s_waitcnt lgkmcnt(0)
	v_cmp_gt_u32_e32 vcc_lo, v6, v19
	v_cndmask_b32_e32 v2, v7, v2, vcc_lo
	v_cndmask_b32_e32 v3, v3, v4, vcc_lo
	;; [unrolled: 18-line block ×4, first 2 shown]
	s_delay_alu instid0(VALU_DEP_1) | instskip(NEXT) | instid1(VALU_DEP_1)
	v_sub_nc_u32_e32 v4, v3, v2
	v_lshrrev_b16 v6, 15, v4
	s_delay_alu instid0(VALU_DEP_1) | instskip(NEXT) | instid1(VALU_DEP_1)
	v_add_nc_u16 v4, v4, v6
	v_ashrrev_i16 v4, 1, v4
	s_delay_alu instid0(VALU_DEP_1) | instskip(NEXT) | instid1(VALU_DEP_1)
	v_bfe_i32 v4, v4, 0, 16
	v_add_nc_u32_e32 v4, v2, v4
	s_delay_alu instid0(VALU_DEP_1) | instskip(NEXT) | instid1(VALU_DEP_1)
	v_min_i32_e32 v4, 0x3ff, v4
	v_add_nc_u32_e32 v7, 1, v4
	v_lshlrev_b32_e32 v6, 2, v4
	ds_load_b32 v6, v6 offset:1024
	s_waitcnt lgkmcnt(0)
	v_cmp_gt_u32_e32 vcc_lo, v6, v19
	v_cndmask_b32_e32 v2, v7, v2, vcc_lo
	v_cndmask_b32_e32 v3, v3, v4, vcc_lo
	s_delay_alu instid0(VALU_DEP_1) | instskip(NEXT) | instid1(VALU_DEP_1)
	v_sub_nc_u32_e32 v4, v3, v2
	v_lshrrev_b16 v6, 15, v4
	s_delay_alu instid0(VALU_DEP_1) | instskip(NEXT) | instid1(VALU_DEP_1)
	v_add_nc_u16 v4, v4, v6
	v_ashrrev_i16 v4, 1, v4
	s_delay_alu instid0(VALU_DEP_1) | instskip(NEXT) | instid1(VALU_DEP_1)
	v_bfe_i32 v4, v4, 0, 16
	v_add_nc_u32_e32 v4, v2, v4
	s_delay_alu instid0(VALU_DEP_1) | instskip(NEXT) | instid1(VALU_DEP_1)
	v_min_i32_e32 v4, 0x3ff, v4
	v_add_nc_u32_e32 v7, 1, v4
	v_lshlrev_b32_e32 v6, 2, v4
	ds_load_b32 v6, v6 offset:1024
	s_waitcnt lgkmcnt(0)
	v_cmp_gt_u32_e32 vcc_lo, v6, v19
	v_cndmask_b32_e32 v2, v7, v2, vcc_lo
	v_cndmask_b32_e32 v3, v3, v4, vcc_lo
	;; [unrolled: 18-line block ×4, first 2 shown]
	s_delay_alu instid0(VALU_DEP_1) | instskip(NEXT) | instid1(VALU_DEP_1)
	v_sub_nc_u32_e32 v3, v3, v2
	v_lshrrev_b16 v4, 15, v3
	s_delay_alu instid0(VALU_DEP_1) | instskip(NEXT) | instid1(VALU_DEP_1)
	v_add_nc_u16 v3, v3, v4
	v_ashrrev_i16 v3, 1, v3
	s_delay_alu instid0(VALU_DEP_1) | instskip(NEXT) | instid1(VALU_DEP_1)
	v_bfe_i32 v3, v3, 0, 16
	v_add_nc_u32_e32 v3, v2, v3
	s_delay_alu instid0(VALU_DEP_1) | instskip(NEXT) | instid1(VALU_DEP_1)
	v_min_i32_e32 v3, 0x3ff, v3
	v_lshlrev_b32_e32 v4, 2, v3
	v_add_nc_u32_e32 v3, 1, v3
	ds_load_b32 v4, v4 offset:1024
	s_waitcnt lgkmcnt(0)
	v_cmp_gt_u32_e32 vcc_lo, v4, v19
	v_dual_cndmask_b32 v22, v3, v2 :: v_dual_add_nc_u32 v3, 1, v19
	s_delay_alu instid0(VALU_DEP_1) | instskip(NEXT) | instid1(VALU_DEP_1)
	v_lshlrev_b32_e32 v6, 2, v22
	v_add_nc_u32_e32 v2, 0x3fc, v6
	ds_load_2addr_b32 v[8:9], v2 offset1:1
	v_add_nc_u32_e32 v2, -1, v22
	ds_load_u8 v20, v2
	s_waitcnt lgkmcnt(1)
	v_sub_nc_u32_e32 v2, 0, v8
	s_delay_alu instid0(VALU_DEP_1) | instskip(SKIP_3) | instid1(VALU_DEP_3)
	v_add_co_u32 v2, vcc_lo, v19, v2
	v_cmp_eq_u32_e32 vcc_lo, v3, v9
	s_waitcnt lgkmcnt(0)
	v_dual_mov_b32 v4, v3 :: v_dual_mov_b32 v21, v20
	v_mov_b32_e32 v3, v2
	s_and_saveexec_b32 s0, vcc_lo
	s_cbranch_execz .LBB24_11
; %bb.10:                               ;   in Loop: Header=BB24_9 Depth=1
	ds_load_b32 v4, v6 offset:1028
	ds_load_u8 v21, v22
	v_sub_nc_u32_e32 v3, 0, v9
	v_add_nc_u32_e32 v22, 1, v22
	s_delay_alu instid0(VALU_DEP_2)
	v_add_co_u32 v3, vcc_lo, v19, v3
	s_waitcnt lgkmcnt(1)
	v_mov_b32_e32 v9, v4
.LBB24_11:                              ;   in Loop: Header=BB24_9 Depth=1
	s_or_b32 exec_lo, exec_lo, s0
	v_dual_mov_b32 v7, v4 :: v_dual_add_nc_u32 v8, 2, v19
	v_mov_b32_e32 v6, v3
	s_waitcnt lgkmcnt(0)
	v_mov_b32_e32 v4, v21
	s_mov_b32 s0, exec_lo
	v_cmpx_eq_u32_e64 v8, v9
	s_cbranch_execz .LBB24_13
; %bb.12:                               ;   in Loop: Header=BB24_9 Depth=1
	v_add_nc_u32_e32 v7, 1, v22
	v_sub_nc_u32_e32 v6, 0, v9
	s_delay_alu instid0(VALU_DEP_2) | instskip(NEXT) | instid1(VALU_DEP_2)
	v_lshlrev_b32_e32 v4, 2, v7
	v_add_co_u32 v6, vcc_lo, v19, v6
	ds_load_b32 v8, v4 offset:1024
	ds_load_u8 v4, v22
	s_waitcnt lgkmcnt(1)
	v_dual_mov_b32 v22, v7 :: v_dual_mov_b32 v9, v8
.LBB24_13:                              ;   in Loop: Header=BB24_9 Depth=1
	s_or_b32 exec_lo, exec_lo, s0
	v_dual_mov_b32 v8, v7 :: v_dual_add_nc_u32 v23, 3, v19
	v_mov_b32_e32 v7, v6
	s_delay_alu instid0(VALU_DEP_2)
	v_cmp_eq_u32_e32 vcc_lo, v23, v9
	s_waitcnt lgkmcnt(0)
	v_mov_b32_e32 v23, v4
	s_and_saveexec_b32 s0, vcc_lo
	s_cbranch_execz .LBB24_15
; %bb.14:                               ;   in Loop: Header=BB24_9 Depth=1
	v_lshlrev_b32_e32 v7, 2, v22
	ds_load_b32 v7, v7 offset:1024
	ds_load_u8 v23, v22
	s_waitcnt lgkmcnt(1)
	v_sub_nc_u32_e32 v7, 0, v7
	s_delay_alu instid0(VALU_DEP_1)
	v_add_co_u32 v7, vcc_lo, v19, v7
.LBB24_15:                              ;   in Loop: Header=BB24_9 Depth=1
	s_or_b32 exec_lo, exec_lo, s0
	v_add_co_u32 v8, vcc_lo, v12, s4
	s_min_u32 s2, s6, 0x400
	v_add_co_ci_u32_e32 v9, vcc_lo, s5, v13, vcc_lo
	v_cmp_gt_u32_e32 vcc_lo, s2, v5
	s_and_saveexec_b32 s0, vcc_lo
	s_cbranch_execnz .LBB24_23
; %bb.16:                               ;   in Loop: Header=BB24_9 Depth=1
	s_or_b32 exec_lo, exec_lo, s0
	v_cmp_gt_u32_e64 s0, s2, v14
	s_delay_alu instid0(VALU_DEP_1)
	s_and_saveexec_b32 s1, s0
	s_cbranch_execnz .LBB24_24
.LBB24_17:                              ;   in Loop: Header=BB24_9 Depth=1
	s_or_b32 exec_lo, exec_lo, s1
	v_cmp_gt_u32_e64 s1, s2, v15
	s_delay_alu instid0(VALU_DEP_1)
	s_and_saveexec_b32 s7, s1
	s_cbranch_execnz .LBB24_25
.LBB24_18:                              ;   in Loop: Header=BB24_9 Depth=1
	s_or_b32 exec_lo, exec_lo, s7
	v_cmp_gt_u32_e64 s2, s2, v16
	s_delay_alu instid0(VALU_DEP_1)
	s_and_saveexec_b32 s7, s2
	s_cbranch_execnz .LBB24_26
.LBB24_19:                              ;   in Loop: Header=BB24_9 Depth=1
	s_or_b32 exec_lo, exec_lo, s7
	s_and_saveexec_b32 s7, vcc_lo
	s_cbranch_execnz .LBB24_27
.LBB24_20:                              ;   in Loop: Header=BB24_9 Depth=1
	s_or_b32 exec_lo, exec_lo, s7
	s_and_saveexec_b32 s7, s0
	s_cbranch_execnz .LBB24_28
.LBB24_21:                              ;   in Loop: Header=BB24_9 Depth=1
	s_or_b32 exec_lo, exec_lo, s7
	s_and_saveexec_b32 s0, s1
	s_cbranch_execnz .LBB24_29
.LBB24_22:                              ;   in Loop: Header=BB24_9 Depth=1
	s_or_b32 exec_lo, exec_lo, s0
	s_and_saveexec_b32 s0, s2
	s_cbranch_execz .LBB24_8
	s_branch .LBB24_30
.LBB24_23:                              ;   in Loop: Header=BB24_9 Depth=1
	global_store_b8 v[8:9], v20, off
	s_or_b32 exec_lo, exec_lo, s0
	v_cmp_gt_u32_e64 s0, s2, v14
	s_delay_alu instid0(VALU_DEP_1)
	s_and_saveexec_b32 s1, s0
	s_cbranch_execz .LBB24_17
.LBB24_24:                              ;   in Loop: Header=BB24_9 Depth=1
	global_store_b8 v[8:9], v21, off offset:1
	s_or_b32 exec_lo, exec_lo, s1
	v_cmp_gt_u32_e64 s1, s2, v15
	s_delay_alu instid0(VALU_DEP_1)
	s_and_saveexec_b32 s7, s1
	s_cbranch_execz .LBB24_18
.LBB24_25:                              ;   in Loop: Header=BB24_9 Depth=1
	global_store_b8 v[8:9], v4, off offset:2
	s_or_b32 exec_lo, exec_lo, s7
	v_cmp_gt_u32_e64 s2, s2, v16
	s_delay_alu instid0(VALU_DEP_1)
	s_and_saveexec_b32 s7, s2
	s_cbranch_execz .LBB24_19
.LBB24_26:                              ;   in Loop: Header=BB24_9 Depth=1
	s_waitcnt lgkmcnt(0)
	global_store_b8 v[8:9], v23, off offset:3
	s_or_b32 exec_lo, exec_lo, s7
	s_and_saveexec_b32 s7, vcc_lo
	s_cbranch_execz .LBB24_20
.LBB24_27:                              ;   in Loop: Header=BB24_9 Depth=1
	global_store_b32 v[0:1], v2, off offset:-8
	s_or_b32 exec_lo, exec_lo, s7
	s_and_saveexec_b32 s7, s0
	s_cbranch_execz .LBB24_21
.LBB24_28:                              ;   in Loop: Header=BB24_9 Depth=1
	v_add_nc_u32_e32 v2, 1, v3
	global_store_b32 v[0:1], v2, off offset:-4
	s_or_b32 exec_lo, exec_lo, s7
	s_and_saveexec_b32 s0, s1
	s_cbranch_execz .LBB24_22
.LBB24_29:                              ;   in Loop: Header=BB24_9 Depth=1
	v_add_nc_u32_e32 v2, 2, v6
	global_store_b32 v[0:1], v2, off
	s_or_b32 exec_lo, exec_lo, s0
	s_and_saveexec_b32 s0, s2
	s_cbranch_execz .LBB24_8
.LBB24_30:                              ;   in Loop: Header=BB24_9 Depth=1
	v_add_nc_u32_e32 v2, 3, v7
	global_store_b32 v[0:1], v2, off offset:4
	s_branch .LBB24_8
.LBB24_31:
	s_nop 0
	s_sendmsg sendmsg(MSG_DEALLOC_VGPRS)
	s_endpgm
	.section	.rodata,"a",@progbits
	.p2align	6, 0x0
	.amdhsa_kernel _Z30block_run_length_decode_kernelIaiLj256ELj4ELj4EEvPKT_PKT0_PS0_PS3_
		.amdhsa_group_segment_fixed_size 5120
		.amdhsa_private_segment_fixed_size 0
		.amdhsa_kernarg_size 32
		.amdhsa_user_sgpr_count 15
		.amdhsa_user_sgpr_dispatch_ptr 0
		.amdhsa_user_sgpr_queue_ptr 0
		.amdhsa_user_sgpr_kernarg_segment_ptr 1
		.amdhsa_user_sgpr_dispatch_id 0
		.amdhsa_user_sgpr_private_segment_size 0
		.amdhsa_wavefront_size32 1
		.amdhsa_uses_dynamic_stack 0
		.amdhsa_enable_private_segment 0
		.amdhsa_system_sgpr_workgroup_id_x 1
		.amdhsa_system_sgpr_workgroup_id_y 0
		.amdhsa_system_sgpr_workgroup_id_z 0
		.amdhsa_system_sgpr_workgroup_info 0
		.amdhsa_system_vgpr_workitem_id 0
		.amdhsa_next_free_vgpr 24
		.amdhsa_next_free_sgpr 16
		.amdhsa_reserve_vcc 1
		.amdhsa_float_round_mode_32 0
		.amdhsa_float_round_mode_16_64 0
		.amdhsa_float_denorm_mode_32 3
		.amdhsa_float_denorm_mode_16_64 3
		.amdhsa_dx10_clamp 1
		.amdhsa_ieee_mode 1
		.amdhsa_fp16_overflow 0
		.amdhsa_workgroup_processor_mode 1
		.amdhsa_memory_ordered 1
		.amdhsa_forward_progress 0
		.amdhsa_shared_vgpr_count 0
		.amdhsa_exception_fp_ieee_invalid_op 0
		.amdhsa_exception_fp_denorm_src 0
		.amdhsa_exception_fp_ieee_div_zero 0
		.amdhsa_exception_fp_ieee_overflow 0
		.amdhsa_exception_fp_ieee_underflow 0
		.amdhsa_exception_fp_ieee_inexact 0
		.amdhsa_exception_int_div_zero 0
	.end_amdhsa_kernel
	.section	.text._Z30block_run_length_decode_kernelIaiLj256ELj4ELj4EEvPKT_PKT0_PS0_PS3_,"axG",@progbits,_Z30block_run_length_decode_kernelIaiLj256ELj4ELj4EEvPKT_PKT0_PS0_PS3_,comdat
.Lfunc_end24:
	.size	_Z30block_run_length_decode_kernelIaiLj256ELj4ELj4EEvPKT_PKT0_PS0_PS3_, .Lfunc_end24-_Z30block_run_length_decode_kernelIaiLj256ELj4ELj4EEvPKT_PKT0_PS0_PS3_
                                        ; -- End function
	.section	.AMDGPU.csdata,"",@progbits
; Kernel info:
; codeLenInByte = 2428
; NumSgprs: 18
; NumVgprs: 24
; ScratchSize: 0
; MemoryBound: 0
; FloatMode: 240
; IeeeMode: 1
; LDSByteSize: 5120 bytes/workgroup (compile time only)
; SGPRBlocks: 2
; VGPRBlocks: 2
; NumSGPRsForWavesPerEU: 18
; NumVGPRsForWavesPerEU: 24
; Occupancy: 16
; WaveLimiterHint : 0
; COMPUTE_PGM_RSRC2:SCRATCH_EN: 0
; COMPUTE_PGM_RSRC2:USER_SGPR: 15
; COMPUTE_PGM_RSRC2:TRAP_HANDLER: 0
; COMPUTE_PGM_RSRC2:TGID_X_EN: 1
; COMPUTE_PGM_RSRC2:TGID_Y_EN: 0
; COMPUTE_PGM_RSRC2:TGID_Z_EN: 0
; COMPUTE_PGM_RSRC2:TIDIG_COMP_CNT: 0
	.section	.text._Z30block_run_length_decode_kernelIiiLj256ELj4ELj4EEvPKT_PKT0_PS0_PS3_,"axG",@progbits,_Z30block_run_length_decode_kernelIiiLj256ELj4ELj4EEvPKT_PKT0_PS0_PS3_,comdat
	.protected	_Z30block_run_length_decode_kernelIiiLj256ELj4ELj4EEvPKT_PKT0_PS0_PS3_ ; -- Begin function _Z30block_run_length_decode_kernelIiiLj256ELj4ELj4EEvPKT_PKT0_PS0_PS3_
	.globl	_Z30block_run_length_decode_kernelIiiLj256ELj4ELj4EEvPKT_PKT0_PS0_PS3_
	.p2align	8
	.type	_Z30block_run_length_decode_kernelIiiLj256ELj4ELj4EEvPKT_PKT0_PS0_PS3_,@function
_Z30block_run_length_decode_kernelIiiLj256ELj4ELj4EEvPKT_PKT0_PS0_PS3_: ; @_Z30block_run_length_decode_kernelIiiLj256ELj4ELj4EEvPKT_PKT0_PS0_PS3_
; %bb.0:
	s_load_b256 s[0:7], s[0:1], 0x0
	v_lshlrev_b32_e32 v12, 2, v0
	v_mov_b32_e32 v10, 0
	v_mbcnt_lo_u32_b32 v13, -1, 0
	v_or_b32_e32 v16, 31, v0
	s_delay_alu instid0(VALU_DEP_4) | instskip(NEXT) | instid1(VALU_DEP_1)
	v_lshl_or_b32 v9, s15, 10, v12
	v_lshlrev_b64 v[10:11], 2, v[9:10]
	s_waitcnt lgkmcnt(0)
	s_delay_alu instid0(VALU_DEP_1) | instskip(NEXT) | instid1(VALU_DEP_2)
	v_add_co_u32 v1, vcc_lo, s2, v10
	v_add_co_ci_u32_e32 v2, vcc_lo, s3, v11, vcc_lo
	global_load_b128 v[5:8], v[1:2], off
	v_add_co_u32 v1, vcc_lo, s0, v10
	v_add_co_ci_u32_e32 v2, vcc_lo, s1, v11, vcc_lo
	s_mov_b32 s0, exec_lo
	global_load_b128 v[1:4], v[1:2], off
	s_waitcnt vmcnt(1)
	v_add_nc_u32_e32 v14, v6, v5
	s_delay_alu instid0(VALU_DEP_1) | instskip(SKIP_1) | instid1(VALU_DEP_2)
	v_add3_u32 v8, v14, v7, v8
	v_and_b32_e32 v14, 15, v13
	v_mov_b32_dpp v15, v8 row_shr:1 row_mask:0xf bank_mask:0xf
	s_delay_alu instid0(VALU_DEP_2) | instskip(NEXT) | instid1(VALU_DEP_2)
	v_cmp_ne_u32_e32 vcc_lo, 0, v14
	v_cndmask_b32_e32 v15, 0, v15, vcc_lo
	v_cmp_lt_u32_e32 vcc_lo, 1, v14
	s_delay_alu instid0(VALU_DEP_2) | instskip(NEXT) | instid1(VALU_DEP_1)
	v_add_nc_u32_e32 v8, v15, v8
	v_mov_b32_dpp v15, v8 row_shr:2 row_mask:0xf bank_mask:0xf
	s_delay_alu instid0(VALU_DEP_1) | instskip(SKIP_1) | instid1(VALU_DEP_2)
	v_cndmask_b32_e32 v15, 0, v15, vcc_lo
	v_cmp_lt_u32_e32 vcc_lo, 3, v14
	v_add_nc_u32_e32 v8, v8, v15
	s_delay_alu instid0(VALU_DEP_1) | instskip(NEXT) | instid1(VALU_DEP_1)
	v_mov_b32_dpp v15, v8 row_shr:4 row_mask:0xf bank_mask:0xf
	v_cndmask_b32_e32 v15, 0, v15, vcc_lo
	v_cmp_lt_u32_e32 vcc_lo, 7, v14
	s_delay_alu instid0(VALU_DEP_2) | instskip(NEXT) | instid1(VALU_DEP_1)
	v_add_nc_u32_e32 v8, v8, v15
	v_mov_b32_dpp v15, v8 row_shr:8 row_mask:0xf bank_mask:0xf
	s_delay_alu instid0(VALU_DEP_1) | instskip(SKIP_1) | instid1(VALU_DEP_2)
	v_cndmask_b32_e32 v14, 0, v15, vcc_lo
	v_bfe_i32 v15, v13, 4, 1
	v_add_nc_u32_e32 v8, v8, v14
	ds_swizzle_b32 v14, v8 offset:swizzle(BROADCAST,32,15)
	s_waitcnt lgkmcnt(0)
	v_and_b32_e32 v15, v15, v14
	v_lshrrev_b32_e32 v14, 5, v0
	s_delay_alu instid0(VALU_DEP_2)
	v_add_nc_u32_e32 v8, v8, v15
	v_cmpx_eq_u32_e64 v16, v0
	s_cbranch_execz .LBB25_2
; %bb.1:
	s_delay_alu instid0(VALU_DEP_3)
	v_lshlrev_b32_e32 v15, 2, v14
	ds_store_b32 v15, v8
.LBB25_2:
	s_or_b32 exec_lo, exec_lo, s0
	s_delay_alu instid0(SALU_CYCLE_1)
	s_mov_b32 s0, exec_lo
	s_waitcnt vmcnt(0) lgkmcnt(0)
	s_barrier
	buffer_gl0_inv
	v_cmpx_gt_u32_e32 8, v0
	s_cbranch_execz .LBB25_4
; %bb.3:
	ds_load_b32 v15, v12
	v_and_b32_e32 v16, 7, v13
	s_delay_alu instid0(VALU_DEP_1) | instskip(SKIP_2) | instid1(VALU_DEP_1)
	v_cmp_ne_u32_e32 vcc_lo, 0, v16
	s_waitcnt lgkmcnt(0)
	v_mov_b32_dpp v17, v15 row_shr:1 row_mask:0xf bank_mask:0xf
	v_cndmask_b32_e32 v17, 0, v17, vcc_lo
	v_cmp_lt_u32_e32 vcc_lo, 1, v16
	s_delay_alu instid0(VALU_DEP_2) | instskip(NEXT) | instid1(VALU_DEP_1)
	v_add_nc_u32_e32 v15, v17, v15
	v_mov_b32_dpp v17, v15 row_shr:2 row_mask:0xf bank_mask:0xf
	s_delay_alu instid0(VALU_DEP_1) | instskip(SKIP_1) | instid1(VALU_DEP_2)
	v_cndmask_b32_e32 v17, 0, v17, vcc_lo
	v_cmp_lt_u32_e32 vcc_lo, 3, v16
	v_add_nc_u32_e32 v15, v15, v17
	s_delay_alu instid0(VALU_DEP_1) | instskip(NEXT) | instid1(VALU_DEP_1)
	v_mov_b32_dpp v17, v15 row_shr:4 row_mask:0xf bank_mask:0xf
	v_cndmask_b32_e32 v16, 0, v17, vcc_lo
	s_delay_alu instid0(VALU_DEP_1)
	v_add_nc_u32_e32 v15, v15, v16
	ds_store_b32 v12, v15
.LBB25_4:
	s_or_b32 exec_lo, exec_lo, s0
	v_dual_mov_b32 v15, 0 :: v_dual_mov_b32 v16, 0
	s_mov_b32 s0, exec_lo
	s_waitcnt lgkmcnt(0)
	s_barrier
	buffer_gl0_inv
	v_cmpx_lt_u32_e32 31, v0
	s_cbranch_execz .LBB25_6
; %bb.5:
	v_lshl_add_u32 v14, v14, 2, -4
	ds_load_b32 v16, v14
.LBB25_6:
	s_or_b32 exec_lo, exec_lo, s0
	v_add_nc_u32_e32 v14, -1, v13
	s_waitcnt lgkmcnt(0)
	v_add_nc_u32_e32 v8, v16, v8
	s_mov_b32 s8, 0
	s_delay_alu instid0(VALU_DEP_2) | instskip(SKIP_2) | instid1(VALU_DEP_2)
	v_cmp_gt_i32_e32 vcc_lo, 0, v14
	v_cndmask_b32_e32 v14, v14, v13, vcc_lo
	v_cmp_eq_u32_e32 vcc_lo, 0, v13
	v_lshlrev_b32_e32 v14, 2, v14
	ds_bpermute_b32 v8, v14, v8
	ds_load_b32 v14, v15 offset:28
	s_waitcnt lgkmcnt(0)
	s_barrier
	buffer_gl0_inv
	v_cndmask_b32_e32 v8, v8, v16, vcc_lo
	v_cmp_ne_u32_e32 vcc_lo, 0, v0
	v_readfirstlane_b32 s9, v14
	s_delay_alu instid0(VALU_DEP_3) | instskip(SKIP_2) | instid1(VALU_DEP_3)
	v_cndmask_b32_e32 v0, 0, v8, vcc_lo
	v_lshlrev_b32_e32 v8, 2, v12
	v_cmp_eq_u32_e32 vcc_lo, 0, v14
	v_add_nc_u32_e32 v5, v0, v5
	s_delay_alu instid0(VALU_DEP_3) | instskip(SKIP_4) | instid1(VALU_DEP_1)
	v_or_b32_e32 v13, 0x1000, v8
	ds_store_2addr_b32 v8, v1, v2 offset1:1
	v_add_nc_u32_e32 v1, 0x1008, v8
	s_and_b32 vcc_lo, exec_lo, vcc_lo
	v_add_nc_u32_e32 v6, v5, v6
	v_add_nc_u32_e32 v2, v6, v7
	ds_store_2addr_b32 v8, v3, v4 offset0:2 offset1:3
	ds_store_2addr_b32 v13, v0, v5 offset1:1
	ds_store_2addr_b32 v1, v6, v2 offset1:1
	s_waitcnt lgkmcnt(0)
	s_barrier
	buffer_gl0_inv
	s_cbranch_vccnz .LBB25_31
; %bb.7:
	v_dual_mov_b32 v0, 0 :: v_dual_mov_b32 v7, 0x200
	v_or_b32_e32 v4, 1, v9
	v_or_b32_e32 v5, 2, v9
	;; [unrolled: 1-line block ×3, first 2 shown]
	ds_load_b32 v3, v0 offset:6144
	v_mov_b32_e32 v8, 0x100
	s_mov_b32 s10, s9
	s_branch .LBB25_9
.LBB25_8:                               ;   in Loop: Header=BB25_9 Depth=1
	s_or_b32 exec_lo, exec_lo, s0
	s_addk_i32 s8, 0x400
	s_addk_i32 s10, 0xfc00
	s_add_u32 s6, s6, 0x1000
	s_addc_u32 s7, s7, 0
	s_add_u32 s4, s4, 0x1000
	s_addc_u32 s5, s5, 0
	s_cmp_lt_u32 s8, s9
	s_cbranch_scc0 .LBB25_31
.LBB25_9:                               ; =>This Inner Loop Header: Depth=1
	v_add_nc_u32_e32 v2, s8, v12
	s_waitcnt lgkmcnt(0)
	s_delay_alu instid0(VALU_DEP_1) | instskip(SKIP_2) | instid1(VALU_DEP_2)
	v_cmp_gt_u32_e32 vcc_lo, v3, v2
	v_cndmask_b32_e32 v1, 0x300, v8, vcc_lo
	v_cndmask_b32_e64 v0, 0x201, 0, vcc_lo
	v_dual_cndmask_b32 v14, 0x400, v7 :: v_dual_lshlrev_b32 v13, 2, v1
	v_or_b32_e32 v15, 1, v1
	ds_load_b32 v13, v13 offset:4096
	s_waitcnt lgkmcnt(0)
	v_cmp_gt_u32_e32 vcc_lo, v13, v2
	v_dual_cndmask_b32 v0, v15, v0 :: v_dual_cndmask_b32 v1, v14, v1
	s_delay_alu instid0(VALU_DEP_1) | instskip(NEXT) | instid1(VALU_DEP_1)
	v_sub_nc_u32_e32 v13, v1, v0
	v_lshrrev_b16 v14, 15, v13
	s_delay_alu instid0(VALU_DEP_1) | instskip(NEXT) | instid1(VALU_DEP_1)
	v_add_nc_u16 v13, v13, v14
	v_ashrrev_i16 v13, 1, v13
	s_delay_alu instid0(VALU_DEP_1) | instskip(NEXT) | instid1(VALU_DEP_1)
	v_bfe_i32 v13, v13, 0, 16
	v_add_nc_u32_e32 v13, v0, v13
	s_delay_alu instid0(VALU_DEP_1) | instskip(NEXT) | instid1(VALU_DEP_1)
	v_min_i32_e32 v13, 0x3ff, v13
	v_lshlrev_b32_e32 v14, 2, v13
	v_add_nc_u32_e32 v15, 1, v13
	ds_load_b32 v14, v14 offset:4096
	s_waitcnt lgkmcnt(0)
	v_cmp_gt_u32_e32 vcc_lo, v14, v2
	v_dual_cndmask_b32 v0, v15, v0 :: v_dual_cndmask_b32 v1, v1, v13
	s_delay_alu instid0(VALU_DEP_1) | instskip(NEXT) | instid1(VALU_DEP_1)
	v_sub_nc_u32_e32 v13, v1, v0
	v_lshrrev_b16 v14, 15, v13
	s_delay_alu instid0(VALU_DEP_1) | instskip(NEXT) | instid1(VALU_DEP_1)
	v_add_nc_u16 v13, v13, v14
	v_ashrrev_i16 v13, 1, v13
	s_delay_alu instid0(VALU_DEP_1) | instskip(NEXT) | instid1(VALU_DEP_1)
	v_bfe_i32 v13, v13, 0, 16
	v_add_nc_u32_e32 v13, v0, v13
	s_delay_alu instid0(VALU_DEP_1) | instskip(NEXT) | instid1(VALU_DEP_1)
	v_min_i32_e32 v13, 0x3ff, v13
	v_lshlrev_b32_e32 v14, 2, v13
	v_add_nc_u32_e32 v15, 1, v13
	;; [unrolled: 17-line block ×9, first 2 shown]
	ds_load_b32 v13, v13 offset:4096
	s_waitcnt lgkmcnt(0)
	v_cmp_gt_u32_e32 vcc_lo, v13, v2
	v_cndmask_b32_e32 v19, v1, v0, vcc_lo
	s_delay_alu instid0(VALU_DEP_1) | instskip(NEXT) | instid1(VALU_DEP_1)
	v_lshlrev_b32_e32 v15, 2, v19
	v_add_nc_u32_e32 v0, 0xffc, v15
	v_add_nc_u32_e32 v13, -4, v15
	ds_load_2addr_b32 v[0:1], v0 offset1:1
	ds_load_b32 v17, v13
	v_add_nc_u32_e32 v13, 1, v2
	s_waitcnt lgkmcnt(1)
	v_sub_nc_u32_e32 v14, v2, v0
	s_delay_alu instid0(VALU_DEP_2) | instskip(SKIP_1) | instid1(VALU_DEP_2)
	v_cmp_eq_u32_e32 vcc_lo, v13, v1
	s_waitcnt lgkmcnt(0)
	v_dual_mov_b32 v18, v17 :: v_dual_mov_b32 v13, v14
	s_and_saveexec_b32 s0, vcc_lo
	s_cbranch_execz .LBB25_11
; %bb.10:                               ;   in Loop: Header=BB25_9 Depth=1
	ds_load_b32 v0, v15 offset:4100
	ds_load_b32 v18, v15
	v_add_nc_u32_e32 v19, 1, v19
	v_sub_nc_u32_e32 v13, v2, v1
	s_waitcnt lgkmcnt(1)
	v_mov_b32_e32 v1, v0
.LBB25_11:                              ;   in Loop: Header=BB25_9 Depth=1
	s_or_b32 exec_lo, exec_lo, s0
	s_delay_alu instid0(VALU_DEP_1) | instskip(SKIP_3) | instid1(VALU_DEP_2)
	v_dual_mov_b32 v15, v13 :: v_dual_add_nc_u32 v0, 2, v2
	s_waitcnt lgkmcnt(0)
	v_mov_b32_e32 v20, v18
	s_mov_b32 s0, exec_lo
	v_cmpx_eq_u32_e64 v0, v1
	s_cbranch_execz .LBB25_13
; %bb.12:                               ;   in Loop: Header=BB25_9 Depth=1
	v_lshlrev_b32_e32 v0, 2, v19
	v_add_nc_u32_e32 v19, 1, v19
	v_sub_nc_u32_e32 v15, v2, v1
	ds_load_b32 v16, v0 offset:4100
	ds_load_b32 v20, v0
	s_waitcnt lgkmcnt(1)
	v_mov_b32_e32 v1, v16
.LBB25_13:                              ;   in Loop: Header=BB25_9 Depth=1
	s_or_b32 exec_lo, exec_lo, s0
	v_add_nc_u32_e32 v0, 3, v2
	v_mov_b32_e32 v16, v15
	s_delay_alu instid0(VALU_DEP_2)
	v_cmp_eq_u32_e32 vcc_lo, v0, v1
	s_waitcnt lgkmcnt(0)
	v_mov_b32_e32 v0, v20
	s_and_saveexec_b32 s0, vcc_lo
	s_cbranch_execz .LBB25_15
; %bb.14:                               ;   in Loop: Header=BB25_9 Depth=1
	v_lshlrev_b32_e32 v0, 2, v19
	ds_load_2addr_stride64_b32 v[0:1], v0 offset1:16
	s_waitcnt lgkmcnt(0)
	v_sub_nc_u32_e32 v16, v2, v1
.LBB25_15:                              ;   in Loop: Header=BB25_9 Depth=1
	s_or_b32 exec_lo, exec_lo, s0
	v_add_co_u32 v1, vcc_lo, s4, v10
	s_min_u32 s2, s10, 0x400
	v_add_co_ci_u32_e32 v2, vcc_lo, s5, v11, vcc_lo
	v_cmp_gt_u32_e32 vcc_lo, s2, v9
	s_and_saveexec_b32 s0, vcc_lo
	s_cbranch_execnz .LBB25_24
; %bb.16:                               ;   in Loop: Header=BB25_9 Depth=1
	s_or_b32 exec_lo, exec_lo, s0
	v_cmp_gt_u32_e64 s0, s2, v4
	s_delay_alu instid0(VALU_DEP_1)
	s_and_saveexec_b32 s1, s0
	s_cbranch_execnz .LBB25_25
.LBB25_17:                              ;   in Loop: Header=BB25_9 Depth=1
	s_or_b32 exec_lo, exec_lo, s1
	v_cmp_gt_u32_e64 s1, s2, v5
	s_delay_alu instid0(VALU_DEP_1)
	s_and_saveexec_b32 s3, s1
	s_cbranch_execnz .LBB25_26
.LBB25_18:                              ;   in Loop: Header=BB25_9 Depth=1
	s_or_b32 exec_lo, exec_lo, s3
	v_cmp_gt_u32_e64 s2, s2, v6
	s_delay_alu instid0(VALU_DEP_1)
	s_and_saveexec_b32 s3, s2
	s_cbranch_execz .LBB25_20
.LBB25_19:                              ;   in Loop: Header=BB25_9 Depth=1
	global_store_b32 v[1:2], v0, off offset:12
.LBB25_20:                              ;   in Loop: Header=BB25_9 Depth=1
	s_or_b32 exec_lo, exec_lo, s3
	v_add_co_u32 v0, s3, s6, v10
	s_delay_alu instid0(VALU_DEP_1)
	v_add_co_ci_u32_e64 v1, s3, s7, v11, s3
	s_and_saveexec_b32 s3, vcc_lo
	s_cbranch_execnz .LBB25_27
; %bb.21:                               ;   in Loop: Header=BB25_9 Depth=1
	s_or_b32 exec_lo, exec_lo, s3
	s_and_saveexec_b32 s3, s0
	s_cbranch_execnz .LBB25_28
.LBB25_22:                              ;   in Loop: Header=BB25_9 Depth=1
	s_or_b32 exec_lo, exec_lo, s3
	s_and_saveexec_b32 s0, s1
	s_cbranch_execnz .LBB25_29
.LBB25_23:                              ;   in Loop: Header=BB25_9 Depth=1
	s_or_b32 exec_lo, exec_lo, s0
	s_and_saveexec_b32 s0, s2
	s_cbranch_execz .LBB25_8
	s_branch .LBB25_30
.LBB25_24:                              ;   in Loop: Header=BB25_9 Depth=1
	global_store_b32 v[1:2], v17, off
	s_or_b32 exec_lo, exec_lo, s0
	v_cmp_gt_u32_e64 s0, s2, v4
	s_delay_alu instid0(VALU_DEP_1)
	s_and_saveexec_b32 s1, s0
	s_cbranch_execz .LBB25_17
.LBB25_25:                              ;   in Loop: Header=BB25_9 Depth=1
	global_store_b32 v[1:2], v18, off offset:4
	s_or_b32 exec_lo, exec_lo, s1
	v_cmp_gt_u32_e64 s1, s2, v5
	s_delay_alu instid0(VALU_DEP_1)
	s_and_saveexec_b32 s3, s1
	s_cbranch_execz .LBB25_18
.LBB25_26:                              ;   in Loop: Header=BB25_9 Depth=1
	global_store_b32 v[1:2], v20, off offset:8
	s_or_b32 exec_lo, exec_lo, s3
	v_cmp_gt_u32_e64 s2, s2, v6
	s_delay_alu instid0(VALU_DEP_1)
	s_and_saveexec_b32 s3, s2
	s_cbranch_execnz .LBB25_19
	s_branch .LBB25_20
.LBB25_27:                              ;   in Loop: Header=BB25_9 Depth=1
	global_store_b32 v[0:1], v14, off
	s_or_b32 exec_lo, exec_lo, s3
	s_and_saveexec_b32 s3, s0
	s_cbranch_execz .LBB25_22
.LBB25_28:                              ;   in Loop: Header=BB25_9 Depth=1
	v_add_nc_u32_e32 v2, 1, v13
	global_store_b32 v[0:1], v2, off offset:4
	s_or_b32 exec_lo, exec_lo, s3
	s_and_saveexec_b32 s0, s1
	s_cbranch_execz .LBB25_23
.LBB25_29:                              ;   in Loop: Header=BB25_9 Depth=1
	v_add_nc_u32_e32 v2, 2, v15
	global_store_b32 v[0:1], v2, off offset:8
	s_or_b32 exec_lo, exec_lo, s0
	s_and_saveexec_b32 s0, s2
	s_cbranch_execz .LBB25_8
.LBB25_30:                              ;   in Loop: Header=BB25_9 Depth=1
	v_add_nc_u32_e32 v2, 3, v16
	global_store_b32 v[0:1], v2, off offset:12
	s_branch .LBB25_8
.LBB25_31:
	s_nop 0
	s_sendmsg sendmsg(MSG_DEALLOC_VGPRS)
	s_endpgm
	.section	.rodata,"a",@progbits
	.p2align	6, 0x0
	.amdhsa_kernel _Z30block_run_length_decode_kernelIiiLj256ELj4ELj4EEvPKT_PKT0_PS0_PS3_
		.amdhsa_group_segment_fixed_size 8192
		.amdhsa_private_segment_fixed_size 0
		.amdhsa_kernarg_size 32
		.amdhsa_user_sgpr_count 15
		.amdhsa_user_sgpr_dispatch_ptr 0
		.amdhsa_user_sgpr_queue_ptr 0
		.amdhsa_user_sgpr_kernarg_segment_ptr 1
		.amdhsa_user_sgpr_dispatch_id 0
		.amdhsa_user_sgpr_private_segment_size 0
		.amdhsa_wavefront_size32 1
		.amdhsa_uses_dynamic_stack 0
		.amdhsa_enable_private_segment 0
		.amdhsa_system_sgpr_workgroup_id_x 1
		.amdhsa_system_sgpr_workgroup_id_y 0
		.amdhsa_system_sgpr_workgroup_id_z 0
		.amdhsa_system_sgpr_workgroup_info 0
		.amdhsa_system_vgpr_workitem_id 0
		.amdhsa_next_free_vgpr 21
		.amdhsa_next_free_sgpr 16
		.amdhsa_reserve_vcc 1
		.amdhsa_float_round_mode_32 0
		.amdhsa_float_round_mode_16_64 0
		.amdhsa_float_denorm_mode_32 3
		.amdhsa_float_denorm_mode_16_64 3
		.amdhsa_dx10_clamp 1
		.amdhsa_ieee_mode 1
		.amdhsa_fp16_overflow 0
		.amdhsa_workgroup_processor_mode 1
		.amdhsa_memory_ordered 1
		.amdhsa_forward_progress 0
		.amdhsa_shared_vgpr_count 0
		.amdhsa_exception_fp_ieee_invalid_op 0
		.amdhsa_exception_fp_denorm_src 0
		.amdhsa_exception_fp_ieee_div_zero 0
		.amdhsa_exception_fp_ieee_overflow 0
		.amdhsa_exception_fp_ieee_underflow 0
		.amdhsa_exception_fp_ieee_inexact 0
		.amdhsa_exception_int_div_zero 0
	.end_amdhsa_kernel
	.section	.text._Z30block_run_length_decode_kernelIiiLj256ELj4ELj4EEvPKT_PKT0_PS0_PS3_,"axG",@progbits,_Z30block_run_length_decode_kernelIiiLj256ELj4ELj4EEvPKT_PKT0_PS0_PS3_,comdat
.Lfunc_end25:
	.size	_Z30block_run_length_decode_kernelIiiLj256ELj4ELj4EEvPKT_PKT0_PS0_PS3_, .Lfunc_end25-_Z30block_run_length_decode_kernelIiiLj256ELj4ELj4EEvPKT_PKT0_PS0_PS3_
                                        ; -- End function
	.section	.AMDGPU.csdata,"",@progbits
; Kernel info:
; codeLenInByte = 2328
; NumSgprs: 18
; NumVgprs: 21
; ScratchSize: 0
; MemoryBound: 0
; FloatMode: 240
; IeeeMode: 1
; LDSByteSize: 8192 bytes/workgroup (compile time only)
; SGPRBlocks: 2
; VGPRBlocks: 2
; NumSGPRsForWavesPerEU: 18
; NumVGPRsForWavesPerEU: 21
; Occupancy: 16
; WaveLimiterHint : 0
; COMPUTE_PGM_RSRC2:SCRATCH_EN: 0
; COMPUTE_PGM_RSRC2:USER_SGPR: 15
; COMPUTE_PGM_RSRC2:TRAP_HANDLER: 0
; COMPUTE_PGM_RSRC2:TGID_X_EN: 1
; COMPUTE_PGM_RSRC2:TGID_Y_EN: 0
; COMPUTE_PGM_RSRC2:TGID_Z_EN: 0
; COMPUTE_PGM_RSRC2:TIDIG_COMP_CNT: 0
	.text
	.p2alignl 7, 3214868480
	.fill 96, 4, 3214868480
	.type	__hip_cuid_9288645e6356a00,@object ; @__hip_cuid_9288645e6356a00
	.section	.bss,"aw",@nobits
	.globl	__hip_cuid_9288645e6356a00
__hip_cuid_9288645e6356a00:
	.byte	0                               ; 0x0
	.size	__hip_cuid_9288645e6356a00, 1

	.ident	"AMD clang version 19.0.0git (https://github.com/RadeonOpenCompute/llvm-project roc-6.4.0 25133 c7fe45cf4b819c5991fe208aaa96edf142730f1d)"
	.section	".note.GNU-stack","",@progbits
	.addrsig
	.addrsig_sym __hip_cuid_9288645e6356a00
	.amdgpu_metadata
---
amdhsa.kernels:
  - .args:
      - .address_space:  global
        .offset:         0
        .size:           8
        .value_kind:     global_buffer
      - .address_space:  global
        .offset:         8
        .size:           8
        .value_kind:     global_buffer
      - .address_space:  global
        .offset:         16
        .size:           8
        .value_kind:     global_buffer
      - .address_space:  global
        .offset:         24
        .size:           8
        .value_kind:     global_buffer
    .group_segment_fixed_size: 13824
    .kernarg_segment_align: 8
    .kernarg_segment_size: 32
    .language:       OpenCL C
    .language_version:
      - 2
      - 0
    .max_flat_workgroup_size: 256
    .name:           _Z30block_run_length_decode_kernelI12hip_bfloat16iLj256ELj9ELj7EEvPKT_PKT0_PS1_PS4_
    .private_segment_fixed_size: 0
    .sgpr_count:     18
    .sgpr_spill_count: 0
    .symbol:         _Z30block_run_length_decode_kernelI12hip_bfloat16iLj256ELj9ELj7EEvPKT_PKT0_PS1_PS4_.kd
    .uniform_work_group_size: 1
    .uses_dynamic_stack: false
    .vgpr_count:     33
    .vgpr_spill_count: 0
    .wavefront_size: 32
    .workgroup_processor_mode: 1
  - .args:
      - .address_space:  global
        .offset:         0
        .size:           8
        .value_kind:     global_buffer
      - .address_space:  global
        .offset:         8
        .size:           8
        .value_kind:     global_buffer
      - .address_space:  global
        .offset:         16
        .size:           8
        .value_kind:     global_buffer
      - .address_space:  global
        .offset:         24
        .size:           8
        .value_kind:     global_buffer
    .group_segment_fixed_size: 13824
    .kernarg_segment_align: 8
    .kernarg_segment_size: 32
    .language:       OpenCL C
    .language_version:
      - 2
      - 0
    .max_flat_workgroup_size: 256
    .name:           _Z30block_run_length_decode_kernelI6__halfiLj256ELj9ELj7EEvPKT_PKT0_PS1_PS4_
    .private_segment_fixed_size: 0
    .sgpr_count:     18
    .sgpr_spill_count: 0
    .symbol:         _Z30block_run_length_decode_kernelI6__halfiLj256ELj9ELj7EEvPKT_PKT0_PS1_PS4_.kd
    .uniform_work_group_size: 1
    .uses_dynamic_stack: false
    .vgpr_count:     33
    .vgpr_spill_count: 0
    .wavefront_size: 32
    .workgroup_processor_mode: 1
  - .args:
      - .address_space:  global
        .offset:         0
        .size:           8
        .value_kind:     global_buffer
      - .address_space:  global
        .offset:         8
        .size:           8
        .value_kind:     global_buffer
      - .address_space:  global
        .offset:         16
        .size:           8
        .value_kind:     global_buffer
      - .address_space:  global
        .offset:         24
        .size:           8
        .value_kind:     global_buffer
    .group_segment_fixed_size: 18432
    .kernarg_segment_align: 8
    .kernarg_segment_size: 32
    .language:       OpenCL C
    .language_version:
      - 2
      - 0
    .max_flat_workgroup_size: 256
    .name:           _Z30block_run_length_decode_kernelIfiLj256ELj9ELj7EEvPKT_PKT0_PS0_PS3_
    .private_segment_fixed_size: 0
    .sgpr_count:     18
    .sgpr_spill_count: 0
    .symbol:         _Z30block_run_length_decode_kernelIfiLj256ELj9ELj7EEvPKT_PKT0_PS0_PS3_.kd
    .uniform_work_group_size: 1
    .uses_dynamic_stack: false
    .vgpr_count:     32
    .vgpr_spill_count: 0
    .wavefront_size: 32
    .workgroup_processor_mode: 1
  - .args:
      - .address_space:  global
        .offset:         0
        .size:           8
        .value_kind:     global_buffer
      - .address_space:  global
        .offset:         8
        .size:           8
        .value_kind:     global_buffer
      - .address_space:  global
        .offset:         16
        .size:           8
        .value_kind:     global_buffer
      - .address_space:  global
        .offset:         24
        .size:           8
        .value_kind:     global_buffer
    .group_segment_fixed_size: 11520
    .kernarg_segment_align: 8
    .kernarg_segment_size: 32
    .language:       OpenCL C
    .language_version:
      - 2
      - 0
    .max_flat_workgroup_size: 256
    .name:           _Z30block_run_length_decode_kernelIcxLj256ELj9ELj7EEvPKT_PKT0_PS0_PS3_
    .private_segment_fixed_size: 0
    .sgpr_count:     18
    .sgpr_spill_count: 0
    .symbol:         _Z30block_run_length_decode_kernelIcxLj256ELj9ELj7EEvPKT_PKT0_PS0_PS3_.kd
    .uniform_work_group_size: 1
    .uses_dynamic_stack: false
    .vgpr_count:     34
    .vgpr_spill_count: 0
    .wavefront_size: 32
    .workgroup_processor_mode: 1
  - .args:
      - .address_space:  global
        .offset:         0
        .size:           8
        .value_kind:     global_buffer
      - .address_space:  global
        .offset:         8
        .size:           8
        .value_kind:     global_buffer
      - .address_space:  global
        .offset:         16
        .size:           8
        .value_kind:     global_buffer
      - .address_space:  global
        .offset:         24
        .size:           8
        .value_kind:     global_buffer
    .group_segment_fixed_size: 27648
    .kernarg_segment_align: 8
    .kernarg_segment_size: 32
    .language:       OpenCL C
    .language_version:
      - 2
      - 0
    .max_flat_workgroup_size: 256
    .name:           _Z30block_run_length_decode_kernelIdcLj256ELj9ELj7EEvPKT_PKT0_PS0_PS3_
    .private_segment_fixed_size: 0
    .sgpr_count:     18
    .sgpr_spill_count: 0
    .symbol:         _Z30block_run_length_decode_kernelIdcLj256ELj9ELj7EEvPKT_PKT0_PS0_PS3_.kd
    .uniform_work_group_size: 1
    .uses_dynamic_stack: false
    .vgpr_count:     39
    .vgpr_spill_count: 0
    .wavefront_size: 32
    .workgroup_processor_mode: 1
  - .args:
      - .address_space:  global
        .offset:         0
        .size:           8
        .value_kind:     global_buffer
      - .address_space:  global
        .offset:         8
        .size:           8
        .value_kind:     global_buffer
      - .address_space:  global
        .offset:         16
        .size:           8
        .value_kind:     global_buffer
      - .address_space:  global
        .offset:         24
        .size:           8
        .value_kind:     global_buffer
    .group_segment_fixed_size: 18432
    .kernarg_segment_align: 8
    .kernarg_segment_size: 32
    .language:       OpenCL C
    .language_version:
      - 2
      - 0
    .max_flat_workgroup_size: 256
    .name:           _Z30block_run_length_decode_kernelIiiLj256ELj9ELj7EEvPKT_PKT0_PS0_PS3_
    .private_segment_fixed_size: 0
    .sgpr_count:     18
    .sgpr_spill_count: 0
    .symbol:         _Z30block_run_length_decode_kernelIiiLj256ELj9ELj7EEvPKT_PKT0_PS0_PS3_.kd
    .uniform_work_group_size: 1
    .uses_dynamic_stack: false
    .vgpr_count:     32
    .vgpr_spill_count: 0
    .wavefront_size: 32
    .workgroup_processor_mode: 1
  - .args:
      - .address_space:  global
        .offset:         0
        .size:           8
        .value_kind:     global_buffer
      - .address_space:  global
        .offset:         8
        .size:           8
        .value_kind:     global_buffer
      - .address_space:  global
        .offset:         16
        .size:           8
        .value_kind:     global_buffer
      - .address_space:  global
        .offset:         24
        .size:           8
        .value_kind:     global_buffer
    .group_segment_fixed_size: 1536
    .kernarg_segment_align: 8
    .kernarg_segment_size: 32
    .language:       OpenCL C
    .language_version:
      - 2
      - 0
    .max_flat_workgroup_size: 256
    .name:           _Z30block_run_length_decode_kernelI12hip_bfloat16iLj256ELj1ELj14EEvPKT_PKT0_PS1_PS4_
    .private_segment_fixed_size: 0
    .sgpr_count:     22
    .sgpr_spill_count: 0
    .symbol:         _Z30block_run_length_decode_kernelI12hip_bfloat16iLj256ELj1ELj14EEvPKT_PKT0_PS1_PS4_.kd
    .uniform_work_group_size: 1
    .uses_dynamic_stack: false
    .vgpr_count:     53
    .vgpr_spill_count: 0
    .wavefront_size: 32
    .workgroup_processor_mode: 1
  - .args:
      - .address_space:  global
        .offset:         0
        .size:           8
        .value_kind:     global_buffer
      - .address_space:  global
        .offset:         8
        .size:           8
        .value_kind:     global_buffer
      - .address_space:  global
        .offset:         16
        .size:           8
        .value_kind:     global_buffer
      - .address_space:  global
        .offset:         24
        .size:           8
        .value_kind:     global_buffer
    .group_segment_fixed_size: 1536
    .kernarg_segment_align: 8
    .kernarg_segment_size: 32
    .language:       OpenCL C
    .language_version:
      - 2
      - 0
    .max_flat_workgroup_size: 256
    .name:           _Z30block_run_length_decode_kernelI6__halfiLj256ELj1ELj14EEvPKT_PKT0_PS1_PS4_
    .private_segment_fixed_size: 0
    .sgpr_count:     22
    .sgpr_spill_count: 0
    .symbol:         _Z30block_run_length_decode_kernelI6__halfiLj256ELj1ELj14EEvPKT_PKT0_PS1_PS4_.kd
    .uniform_work_group_size: 1
    .uses_dynamic_stack: false
    .vgpr_count:     53
    .vgpr_spill_count: 0
    .wavefront_size: 32
    .workgroup_processor_mode: 1
  - .args:
      - .address_space:  global
        .offset:         0
        .size:           8
        .value_kind:     global_buffer
      - .address_space:  global
        .offset:         8
        .size:           8
        .value_kind:     global_buffer
      - .address_space:  global
        .offset:         16
        .size:           8
        .value_kind:     global_buffer
      - .address_space:  global
        .offset:         24
        .size:           8
        .value_kind:     global_buffer
    .group_segment_fixed_size: 2048
    .kernarg_segment_align: 8
    .kernarg_segment_size: 32
    .language:       OpenCL C
    .language_version:
      - 2
      - 0
    .max_flat_workgroup_size: 256
    .name:           _Z30block_run_length_decode_kernelIfiLj256ELj1ELj14EEvPKT_PKT0_PS0_PS3_
    .private_segment_fixed_size: 0
    .sgpr_count:     22
    .sgpr_spill_count: 0
    .symbol:         _Z30block_run_length_decode_kernelIfiLj256ELj1ELj14EEvPKT_PKT0_PS0_PS3_.kd
    .uniform_work_group_size: 1
    .uses_dynamic_stack: false
    .vgpr_count:     52
    .vgpr_spill_count: 0
    .wavefront_size: 32
    .workgroup_processor_mode: 1
  - .args:
      - .address_space:  global
        .offset:         0
        .size:           8
        .value_kind:     global_buffer
      - .address_space:  global
        .offset:         8
        .size:           8
        .value_kind:     global_buffer
      - .address_space:  global
        .offset:         16
        .size:           8
        .value_kind:     global_buffer
      - .address_space:  global
        .offset:         24
        .size:           8
        .value_kind:     global_buffer
    .group_segment_fixed_size: 1280
    .kernarg_segment_align: 8
    .kernarg_segment_size: 32
    .language:       OpenCL C
    .language_version:
      - 2
      - 0
    .max_flat_workgroup_size: 256
    .name:           _Z30block_run_length_decode_kernelIcxLj256ELj1ELj14EEvPKT_PKT0_PS0_PS3_
    .private_segment_fixed_size: 0
    .sgpr_count:     22
    .sgpr_spill_count: 0
    .symbol:         _Z30block_run_length_decode_kernelIcxLj256ELj1ELj14EEvPKT_PKT0_PS0_PS3_.kd
    .uniform_work_group_size: 1
    .uses_dynamic_stack: false
    .vgpr_count:     54
    .vgpr_spill_count: 0
    .wavefront_size: 32
    .workgroup_processor_mode: 1
  - .args:
      - .address_space:  global
        .offset:         0
        .size:           8
        .value_kind:     global_buffer
      - .address_space:  global
        .offset:         8
        .size:           8
        .value_kind:     global_buffer
      - .address_space:  global
        .offset:         16
        .size:           8
        .value_kind:     global_buffer
      - .address_space:  global
        .offset:         24
        .size:           8
        .value_kind:     global_buffer
    .group_segment_fixed_size: 3072
    .kernarg_segment_align: 8
    .kernarg_segment_size: 32
    .language:       OpenCL C
    .language_version:
      - 2
      - 0
    .max_flat_workgroup_size: 256
    .name:           _Z30block_run_length_decode_kernelIdcLj256ELj1ELj14EEvPKT_PKT0_PS0_PS3_
    .private_segment_fixed_size: 0
    .sgpr_count:     20
    .sgpr_spill_count: 0
    .symbol:         _Z30block_run_length_decode_kernelIdcLj256ELj1ELj14EEvPKT_PKT0_PS0_PS3_.kd
    .uniform_work_group_size: 1
    .uses_dynamic_stack: false
    .vgpr_count:     66
    .vgpr_spill_count: 0
    .wavefront_size: 32
    .workgroup_processor_mode: 1
  - .args:
      - .address_space:  global
        .offset:         0
        .size:           8
        .value_kind:     global_buffer
      - .address_space:  global
        .offset:         8
        .size:           8
        .value_kind:     global_buffer
      - .address_space:  global
        .offset:         16
        .size:           8
        .value_kind:     global_buffer
      - .address_space:  global
        .offset:         24
        .size:           8
        .value_kind:     global_buffer
    .group_segment_fixed_size: 2048
    .kernarg_segment_align: 8
    .kernarg_segment_size: 32
    .language:       OpenCL C
    .language_version:
      - 2
      - 0
    .max_flat_workgroup_size: 256
    .name:           _Z30block_run_length_decode_kernelIiiLj256ELj1ELj14EEvPKT_PKT0_PS0_PS3_
    .private_segment_fixed_size: 0
    .sgpr_count:     22
    .sgpr_spill_count: 0
    .symbol:         _Z30block_run_length_decode_kernelIiiLj256ELj1ELj14EEvPKT_PKT0_PS0_PS3_.kd
    .uniform_work_group_size: 1
    .uses_dynamic_stack: false
    .vgpr_count:     52
    .vgpr_spill_count: 0
    .wavefront_size: 32
    .workgroup_processor_mode: 1
  - .args:
      - .address_space:  global
        .offset:         0
        .size:           8
        .value_kind:     global_buffer
      - .address_space:  global
        .offset:         8
        .size:           8
        .value_kind:     global_buffer
      - .address_space:  global
        .offset:         16
        .size:           8
        .value_kind:     global_buffer
      - .address_space:  global
        .offset:         24
        .size:           8
        .value_kind:     global_buffer
    .group_segment_fixed_size: 12288
    .kernarg_segment_align: 8
    .kernarg_segment_size: 32
    .language:       OpenCL C
    .language_version:
      - 2
      - 0
    .max_flat_workgroup_size: 256
    .name:           _Z30block_run_length_decode_kernelI12hip_bfloat16iLj256ELj8ELj8EEvPKT_PKT0_PS1_PS4_
    .private_segment_fixed_size: 0
    .sgpr_count:     18
    .sgpr_spill_count: 0
    .symbol:         _Z30block_run_length_decode_kernelI12hip_bfloat16iLj256ELj8ELj8EEvPKT_PKT0_PS1_PS4_.kd
    .uniform_work_group_size: 1
    .uses_dynamic_stack: false
    .vgpr_count:     35
    .vgpr_spill_count: 0
    .wavefront_size: 32
    .workgroup_processor_mode: 1
  - .args:
      - .address_space:  global
        .offset:         0
        .size:           8
        .value_kind:     global_buffer
      - .address_space:  global
        .offset:         8
        .size:           8
        .value_kind:     global_buffer
      - .address_space:  global
        .offset:         16
        .size:           8
        .value_kind:     global_buffer
      - .address_space:  global
        .offset:         24
        .size:           8
        .value_kind:     global_buffer
    .group_segment_fixed_size: 12288
    .kernarg_segment_align: 8
    .kernarg_segment_size: 32
    .language:       OpenCL C
    .language_version:
      - 2
      - 0
    .max_flat_workgroup_size: 256
    .name:           _Z30block_run_length_decode_kernelI6__halfiLj256ELj8ELj8EEvPKT_PKT0_PS1_PS4_
    .private_segment_fixed_size: 0
    .sgpr_count:     18
    .sgpr_spill_count: 0
    .symbol:         _Z30block_run_length_decode_kernelI6__halfiLj256ELj8ELj8EEvPKT_PKT0_PS1_PS4_.kd
    .uniform_work_group_size: 1
    .uses_dynamic_stack: false
    .vgpr_count:     35
    .vgpr_spill_count: 0
    .wavefront_size: 32
    .workgroup_processor_mode: 1
  - .args:
      - .address_space:  global
        .offset:         0
        .size:           8
        .value_kind:     global_buffer
      - .address_space:  global
        .offset:         8
        .size:           8
        .value_kind:     global_buffer
      - .address_space:  global
        .offset:         16
        .size:           8
        .value_kind:     global_buffer
      - .address_space:  global
        .offset:         24
        .size:           8
        .value_kind:     global_buffer
    .group_segment_fixed_size: 16384
    .kernarg_segment_align: 8
    .kernarg_segment_size: 32
    .language:       OpenCL C
    .language_version:
      - 2
      - 0
    .max_flat_workgroup_size: 256
    .name:           _Z30block_run_length_decode_kernelIfiLj256ELj8ELj8EEvPKT_PKT0_PS0_PS3_
    .private_segment_fixed_size: 0
    .sgpr_count:     18
    .sgpr_spill_count: 0
    .symbol:         _Z30block_run_length_decode_kernelIfiLj256ELj8ELj8EEvPKT_PKT0_PS0_PS3_.kd
    .uniform_work_group_size: 1
    .uses_dynamic_stack: false
    .vgpr_count:     33
    .vgpr_spill_count: 0
    .wavefront_size: 32
    .workgroup_processor_mode: 1
  - .args:
      - .address_space:  global
        .offset:         0
        .size:           8
        .value_kind:     global_buffer
      - .address_space:  global
        .offset:         8
        .size:           8
        .value_kind:     global_buffer
      - .address_space:  global
        .offset:         16
        .size:           8
        .value_kind:     global_buffer
      - .address_space:  global
        .offset:         24
        .size:           8
        .value_kind:     global_buffer
    .group_segment_fixed_size: 10240
    .kernarg_segment_align: 8
    .kernarg_segment_size: 32
    .language:       OpenCL C
    .language_version:
      - 2
      - 0
    .max_flat_workgroup_size: 256
    .name:           _Z30block_run_length_decode_kernelIcxLj256ELj8ELj8EEvPKT_PKT0_PS0_PS3_
    .private_segment_fixed_size: 0
    .sgpr_count:     18
    .sgpr_spill_count: 0
    .symbol:         _Z30block_run_length_decode_kernelIcxLj256ELj8ELj8EEvPKT_PKT0_PS0_PS3_.kd
    .uniform_work_group_size: 1
    .uses_dynamic_stack: false
    .vgpr_count:     37
    .vgpr_spill_count: 0
    .wavefront_size: 32
    .workgroup_processor_mode: 1
  - .args:
      - .address_space:  global
        .offset:         0
        .size:           8
        .value_kind:     global_buffer
      - .address_space:  global
        .offset:         8
        .size:           8
        .value_kind:     global_buffer
      - .address_space:  global
        .offset:         16
        .size:           8
        .value_kind:     global_buffer
      - .address_space:  global
        .offset:         24
        .size:           8
        .value_kind:     global_buffer
    .group_segment_fixed_size: 24576
    .kernarg_segment_align: 8
    .kernarg_segment_size: 32
    .language:       OpenCL C
    .language_version:
      - 2
      - 0
    .max_flat_workgroup_size: 256
    .name:           _Z30block_run_length_decode_kernelIdcLj256ELj8ELj8EEvPKT_PKT0_PS0_PS3_
    .private_segment_fixed_size: 0
    .sgpr_count:     18
    .sgpr_spill_count: 0
    .symbol:         _Z30block_run_length_decode_kernelIdcLj256ELj8ELj8EEvPKT_PKT0_PS0_PS3_.kd
    .uniform_work_group_size: 1
    .uses_dynamic_stack: false
    .vgpr_count:     47
    .vgpr_spill_count: 0
    .wavefront_size: 32
    .workgroup_processor_mode: 1
  - .args:
      - .address_space:  global
        .offset:         0
        .size:           8
        .value_kind:     global_buffer
      - .address_space:  global
        .offset:         8
        .size:           8
        .value_kind:     global_buffer
      - .address_space:  global
        .offset:         16
        .size:           8
        .value_kind:     global_buffer
      - .address_space:  global
        .offset:         24
        .size:           8
        .value_kind:     global_buffer
    .group_segment_fixed_size: 16384
    .kernarg_segment_align: 8
    .kernarg_segment_size: 32
    .language:       OpenCL C
    .language_version:
      - 2
      - 0
    .max_flat_workgroup_size: 256
    .name:           _Z30block_run_length_decode_kernelIiiLj256ELj8ELj8EEvPKT_PKT0_PS0_PS3_
    .private_segment_fixed_size: 0
    .sgpr_count:     18
    .sgpr_spill_count: 0
    .symbol:         _Z30block_run_length_decode_kernelIiiLj256ELj8ELj8EEvPKT_PKT0_PS0_PS3_.kd
    .uniform_work_group_size: 1
    .uses_dynamic_stack: false
    .vgpr_count:     33
    .vgpr_spill_count: 0
    .wavefront_size: 32
    .workgroup_processor_mode: 1
  - .args:
      - .address_space:  global
        .offset:         0
        .size:           8
        .value_kind:     global_buffer
      - .address_space:  global
        .offset:         8
        .size:           8
        .value_kind:     global_buffer
      - .address_space:  global
        .offset:         16
        .size:           8
        .value_kind:     global_buffer
      - .address_space:  global
        .offset:         24
        .size:           8
        .value_kind:     global_buffer
    .group_segment_fixed_size: 6144
    .kernarg_segment_align: 8
    .kernarg_segment_size: 32
    .language:       OpenCL C
    .language_version:
      - 2
      - 0
    .max_flat_workgroup_size: 256
    .name:           _Z30block_run_length_decode_kernelI12hip_bfloat16iLj256ELj4ELj4EEvPKT_PKT0_PS1_PS4_
    .private_segment_fixed_size: 0
    .sgpr_count:     18
    .sgpr_spill_count: 0
    .symbol:         _Z30block_run_length_decode_kernelI12hip_bfloat16iLj256ELj4ELj4EEvPKT_PKT0_PS1_PS4_.kd
    .uniform_work_group_size: 1
    .uses_dynamic_stack: false
    .vgpr_count:     23
    .vgpr_spill_count: 0
    .wavefront_size: 32
    .workgroup_processor_mode: 1
  - .args:
      - .address_space:  global
        .offset:         0
        .size:           8
        .value_kind:     global_buffer
      - .address_space:  global
        .offset:         8
        .size:           8
        .value_kind:     global_buffer
      - .address_space:  global
        .offset:         16
        .size:           8
        .value_kind:     global_buffer
      - .address_space:  global
        .offset:         24
        .size:           8
        .value_kind:     global_buffer
    .group_segment_fixed_size: 6144
    .kernarg_segment_align: 8
    .kernarg_segment_size: 32
    .language:       OpenCL C
    .language_version:
      - 2
      - 0
    .max_flat_workgroup_size: 256
    .name:           _Z30block_run_length_decode_kernelI6__halfiLj256ELj4ELj4EEvPKT_PKT0_PS1_PS4_
    .private_segment_fixed_size: 0
    .sgpr_count:     18
    .sgpr_spill_count: 0
    .symbol:         _Z30block_run_length_decode_kernelI6__halfiLj256ELj4ELj4EEvPKT_PKT0_PS1_PS4_.kd
    .uniform_work_group_size: 1
    .uses_dynamic_stack: false
    .vgpr_count:     23
    .vgpr_spill_count: 0
    .wavefront_size: 32
    .workgroup_processor_mode: 1
  - .args:
      - .address_space:  global
        .offset:         0
        .size:           8
        .value_kind:     global_buffer
      - .address_space:  global
        .offset:         8
        .size:           8
        .value_kind:     global_buffer
      - .address_space:  global
        .offset:         16
        .size:           8
        .value_kind:     global_buffer
      - .address_space:  global
        .offset:         24
        .size:           8
        .value_kind:     global_buffer
    .group_segment_fixed_size: 8192
    .kernarg_segment_align: 8
    .kernarg_segment_size: 32
    .language:       OpenCL C
    .language_version:
      - 2
      - 0
    .max_flat_workgroup_size: 256
    .name:           _Z30block_run_length_decode_kernelIfiLj256ELj4ELj4EEvPKT_PKT0_PS0_PS3_
    .private_segment_fixed_size: 0
    .sgpr_count:     18
    .sgpr_spill_count: 0
    .symbol:         _Z30block_run_length_decode_kernelIfiLj256ELj4ELj4EEvPKT_PKT0_PS0_PS3_.kd
    .uniform_work_group_size: 1
    .uses_dynamic_stack: false
    .vgpr_count:     21
    .vgpr_spill_count: 0
    .wavefront_size: 32
    .workgroup_processor_mode: 1
  - .args:
      - .address_space:  global
        .offset:         0
        .size:           8
        .value_kind:     global_buffer
      - .address_space:  global
        .offset:         8
        .size:           8
        .value_kind:     global_buffer
      - .address_space:  global
        .offset:         16
        .size:           8
        .value_kind:     global_buffer
      - .address_space:  global
        .offset:         24
        .size:           8
        .value_kind:     global_buffer
    .group_segment_fixed_size: 5120
    .kernarg_segment_align: 8
    .kernarg_segment_size: 32
    .language:       OpenCL C
    .language_version:
      - 2
      - 0
    .max_flat_workgroup_size: 256
    .name:           _Z30block_run_length_decode_kernelIcxLj256ELj4ELj4EEvPKT_PKT0_PS0_PS3_
    .private_segment_fixed_size: 0
    .sgpr_count:     18
    .sgpr_spill_count: 0
    .symbol:         _Z30block_run_length_decode_kernelIcxLj256ELj4ELj4EEvPKT_PKT0_PS0_PS3_.kd
    .uniform_work_group_size: 1
    .uses_dynamic_stack: false
    .vgpr_count:     25
    .vgpr_spill_count: 0
    .wavefront_size: 32
    .workgroup_processor_mode: 1
  - .args:
      - .address_space:  global
        .offset:         0
        .size:           8
        .value_kind:     global_buffer
      - .address_space:  global
        .offset:         8
        .size:           8
        .value_kind:     global_buffer
      - .address_space:  global
        .offset:         16
        .size:           8
        .value_kind:     global_buffer
      - .address_space:  global
        .offset:         24
        .size:           8
        .value_kind:     global_buffer
    .group_segment_fixed_size: 12288
    .kernarg_segment_align: 8
    .kernarg_segment_size: 32
    .language:       OpenCL C
    .language_version:
      - 2
      - 0
    .max_flat_workgroup_size: 256
    .name:           _Z30block_run_length_decode_kernelIdcLj256ELj4ELj4EEvPKT_PKT0_PS0_PS3_
    .private_segment_fixed_size: 0
    .sgpr_count:     18
    .sgpr_spill_count: 0
    .symbol:         _Z30block_run_length_decode_kernelIdcLj256ELj4ELj4EEvPKT_PKT0_PS0_PS3_.kd
    .uniform_work_group_size: 1
    .uses_dynamic_stack: false
    .vgpr_count:     29
    .vgpr_spill_count: 0
    .wavefront_size: 32
    .workgroup_processor_mode: 1
  - .args:
      - .address_space:  global
        .offset:         0
        .size:           8
        .value_kind:     global_buffer
      - .address_space:  global
        .offset:         8
        .size:           8
        .value_kind:     global_buffer
      - .address_space:  global
        .offset:         16
        .size:           8
        .value_kind:     global_buffer
      - .address_space:  global
        .offset:         24
        .size:           8
        .value_kind:     global_buffer
    .group_segment_fixed_size: 5120
    .kernarg_segment_align: 8
    .kernarg_segment_size: 32
    .language:       OpenCL C
    .language_version:
      - 2
      - 0
    .max_flat_workgroup_size: 256
    .name:           _Z30block_run_length_decode_kernelIhiLj256ELj4ELj4EEvPKT_PKT0_PS0_PS3_
    .private_segment_fixed_size: 0
    .sgpr_count:     18
    .sgpr_spill_count: 0
    .symbol:         _Z30block_run_length_decode_kernelIhiLj256ELj4ELj4EEvPKT_PKT0_PS0_PS3_.kd
    .uniform_work_group_size: 1
    .uses_dynamic_stack: false
    .vgpr_count:     24
    .vgpr_spill_count: 0
    .wavefront_size: 32
    .workgroup_processor_mode: 1
  - .args:
      - .address_space:  global
        .offset:         0
        .size:           8
        .value_kind:     global_buffer
      - .address_space:  global
        .offset:         8
        .size:           8
        .value_kind:     global_buffer
      - .address_space:  global
        .offset:         16
        .size:           8
        .value_kind:     global_buffer
      - .address_space:  global
        .offset:         24
        .size:           8
        .value_kind:     global_buffer
    .group_segment_fixed_size: 5120
    .kernarg_segment_align: 8
    .kernarg_segment_size: 32
    .language:       OpenCL C
    .language_version:
      - 2
      - 0
    .max_flat_workgroup_size: 256
    .name:           _Z30block_run_length_decode_kernelIaiLj256ELj4ELj4EEvPKT_PKT0_PS0_PS3_
    .private_segment_fixed_size: 0
    .sgpr_count:     18
    .sgpr_spill_count: 0
    .symbol:         _Z30block_run_length_decode_kernelIaiLj256ELj4ELj4EEvPKT_PKT0_PS0_PS3_.kd
    .uniform_work_group_size: 1
    .uses_dynamic_stack: false
    .vgpr_count:     24
    .vgpr_spill_count: 0
    .wavefront_size: 32
    .workgroup_processor_mode: 1
  - .args:
      - .address_space:  global
        .offset:         0
        .size:           8
        .value_kind:     global_buffer
      - .address_space:  global
        .offset:         8
        .size:           8
        .value_kind:     global_buffer
      - .address_space:  global
        .offset:         16
        .size:           8
        .value_kind:     global_buffer
      - .address_space:  global
        .offset:         24
        .size:           8
        .value_kind:     global_buffer
    .group_segment_fixed_size: 8192
    .kernarg_segment_align: 8
    .kernarg_segment_size: 32
    .language:       OpenCL C
    .language_version:
      - 2
      - 0
    .max_flat_workgroup_size: 256
    .name:           _Z30block_run_length_decode_kernelIiiLj256ELj4ELj4EEvPKT_PKT0_PS0_PS3_
    .private_segment_fixed_size: 0
    .sgpr_count:     18
    .sgpr_spill_count: 0
    .symbol:         _Z30block_run_length_decode_kernelIiiLj256ELj4ELj4EEvPKT_PKT0_PS0_PS3_.kd
    .uniform_work_group_size: 1
    .uses_dynamic_stack: false
    .vgpr_count:     21
    .vgpr_spill_count: 0
    .wavefront_size: 32
    .workgroup_processor_mode: 1
amdhsa.target:   amdgcn-amd-amdhsa--gfx1100
amdhsa.version:
  - 1
  - 2
...

	.end_amdgpu_metadata
